;; amdgpu-corpus repo=ROCm/rocFFT kind=compiled arch=gfx950 opt=O3
	.text
	.amdgcn_target "amdgcn-amd-amdhsa--gfx950"
	.amdhsa_code_object_version 6
	.protected	fft_rtc_back_len3200_factors_10_10_4_4_2_wgs_160_tpt_160_halfLds_sp_ip_CI_unitstride_sbrr_C2R_dirReg ; -- Begin function fft_rtc_back_len3200_factors_10_10_4_4_2_wgs_160_tpt_160_halfLds_sp_ip_CI_unitstride_sbrr_C2R_dirReg
	.globl	fft_rtc_back_len3200_factors_10_10_4_4_2_wgs_160_tpt_160_halfLds_sp_ip_CI_unitstride_sbrr_C2R_dirReg
	.p2align	8
	.type	fft_rtc_back_len3200_factors_10_10_4_4_2_wgs_160_tpt_160_halfLds_sp_ip_CI_unitstride_sbrr_C2R_dirReg,@function
fft_rtc_back_len3200_factors_10_10_4_4_2_wgs_160_tpt_160_halfLds_sp_ip_CI_unitstride_sbrr_C2R_dirReg: ; @fft_rtc_back_len3200_factors_10_10_4_4_2_wgs_160_tpt_160_halfLds_sp_ip_CI_unitstride_sbrr_C2R_dirReg
; %bb.0:
	s_load_dwordx2 s[8:9], s[0:1], 0x50
	s_load_dwordx4 s[4:7], s[0:1], 0x0
	s_load_dwordx2 s[10:11], s[0:1], 0x18
	v_mul_u32_u24_e32 v1, 0x19a, v0
	v_add_u32_sdwa v6, s2, v1 dst_sel:DWORD dst_unused:UNUSED_PAD src0_sel:DWORD src1_sel:WORD_1
	v_mov_b32_e32 v4, 0
	s_waitcnt lgkmcnt(0)
	v_cmp_lt_u64_e64 s[2:3], s[6:7], 2
	v_mov_b32_e32 v7, v4
	s_and_b64 vcc, exec, s[2:3]
	v_mov_b64_e32 v[2:3], 0
	s_cbranch_vccnz .LBB0_8
; %bb.1:
	s_load_dwordx2 s[2:3], s[0:1], 0x10
	s_add_u32 s12, s10, 8
	s_addc_u32 s13, s11, 0
	s_mov_b64 s[14:15], 1
	v_mov_b64_e32 v[2:3], 0
	s_waitcnt lgkmcnt(0)
	s_add_u32 s16, s2, 8
	s_addc_u32 s17, s3, 0
.LBB0_2:                                ; =>This Inner Loop Header: Depth=1
	s_load_dwordx2 s[18:19], s[16:17], 0x0
                                        ; implicit-def: $vgpr8_vgpr9
	s_waitcnt lgkmcnt(0)
	v_or_b32_e32 v5, s19, v7
	v_cmp_ne_u64_e32 vcc, 0, v[4:5]
	s_and_saveexec_b64 s[2:3], vcc
	s_xor_b64 s[20:21], exec, s[2:3]
	s_cbranch_execz .LBB0_4
; %bb.3:                                ;   in Loop: Header=BB0_2 Depth=1
	v_cvt_f32_u32_e32 v1, s18
	v_cvt_f32_u32_e32 v5, s19
	s_sub_u32 s2, 0, s18
	s_subb_u32 s3, 0, s19
	v_fmac_f32_e32 v1, 0x4f800000, v5
	v_rcp_f32_e32 v1, v1
	s_nop 0
	v_mul_f32_e32 v1, 0x5f7ffffc, v1
	v_mul_f32_e32 v5, 0x2f800000, v1
	v_trunc_f32_e32 v5, v5
	v_fmac_f32_e32 v1, 0xcf800000, v5
	v_cvt_u32_f32_e32 v5, v5
	v_cvt_u32_f32_e32 v1, v1
	v_mul_lo_u32 v8, s2, v5
	v_mul_hi_u32 v10, s2, v1
	v_mul_lo_u32 v9, s3, v1
	v_add_u32_e32 v10, v10, v8
	v_mul_lo_u32 v12, s2, v1
	v_add_u32_e32 v13, v10, v9
	v_mul_hi_u32 v8, v1, v12
	v_mul_hi_u32 v11, v1, v13
	v_mul_lo_u32 v10, v1, v13
	v_mov_b32_e32 v9, v4
	v_lshl_add_u64 v[8:9], v[8:9], 0, v[10:11]
	v_mul_hi_u32 v11, v5, v12
	v_mul_lo_u32 v12, v5, v12
	v_add_co_u32_e32 v8, vcc, v8, v12
	v_mul_hi_u32 v10, v5, v13
	s_nop 0
	v_addc_co_u32_e32 v8, vcc, v9, v11, vcc
	v_mov_b32_e32 v9, v4
	s_nop 0
	v_addc_co_u32_e32 v11, vcc, 0, v10, vcc
	v_mul_lo_u32 v10, v5, v13
	v_lshl_add_u64 v[8:9], v[8:9], 0, v[10:11]
	v_add_co_u32_e32 v1, vcc, v1, v8
	v_mul_lo_u32 v10, s2, v1
	s_nop 0
	v_addc_co_u32_e32 v5, vcc, v5, v9, vcc
	v_mul_lo_u32 v8, s2, v5
	v_mul_hi_u32 v9, s2, v1
	v_add_u32_e32 v8, v9, v8
	v_mul_lo_u32 v9, s3, v1
	v_add_u32_e32 v12, v8, v9
	v_mul_hi_u32 v14, v5, v10
	v_mul_lo_u32 v15, v5, v10
	v_mul_hi_u32 v9, v1, v12
	v_mul_lo_u32 v8, v1, v12
	v_mul_hi_u32 v10, v1, v10
	v_mov_b32_e32 v11, v4
	v_lshl_add_u64 v[8:9], v[10:11], 0, v[8:9]
	v_add_co_u32_e32 v8, vcc, v8, v15
	v_mul_hi_u32 v13, v5, v12
	s_nop 0
	v_addc_co_u32_e32 v8, vcc, v9, v14, vcc
	v_mul_lo_u32 v10, v5, v12
	s_nop 0
	v_addc_co_u32_e32 v11, vcc, 0, v13, vcc
	v_mov_b32_e32 v9, v4
	v_lshl_add_u64 v[8:9], v[8:9], 0, v[10:11]
	v_add_co_u32_e32 v1, vcc, v1, v8
	v_mul_hi_u32 v10, v6, v1
	s_nop 0
	v_addc_co_u32_e32 v5, vcc, v5, v9, vcc
	v_mad_u64_u32 v[8:9], s[2:3], v6, v5, 0
	v_mov_b32_e32 v11, v4
	v_lshl_add_u64 v[8:9], v[10:11], 0, v[8:9]
	v_mad_u64_u32 v[12:13], s[2:3], v7, v1, 0
	v_add_co_u32_e32 v1, vcc, v8, v12
	v_mad_u64_u32 v[10:11], s[2:3], v7, v5, 0
	s_nop 0
	v_addc_co_u32_e32 v8, vcc, v9, v13, vcc
	v_mov_b32_e32 v9, v4
	s_nop 0
	v_addc_co_u32_e32 v11, vcc, 0, v11, vcc
	v_lshl_add_u64 v[8:9], v[8:9], 0, v[10:11]
	v_mul_lo_u32 v1, s19, v8
	v_mul_lo_u32 v5, s18, v9
	v_mad_u64_u32 v[10:11], s[2:3], s18, v8, 0
	v_add3_u32 v1, v11, v5, v1
	v_sub_u32_e32 v5, v7, v1
	v_mov_b32_e32 v11, s19
	v_sub_co_u32_e32 v14, vcc, v6, v10
	v_lshl_add_u64 v[12:13], v[8:9], 0, 1
	s_nop 0
	v_subb_co_u32_e64 v5, s[2:3], v5, v11, vcc
	v_subrev_co_u32_e64 v10, s[2:3], s18, v14
	v_subb_co_u32_e32 v1, vcc, v7, v1, vcc
	s_nop 0
	v_subbrev_co_u32_e64 v5, s[2:3], 0, v5, s[2:3]
	v_cmp_le_u32_e64 s[2:3], s19, v5
	v_cmp_le_u32_e32 vcc, s19, v1
	s_nop 0
	v_cndmask_b32_e64 v11, 0, -1, s[2:3]
	v_cmp_le_u32_e64 s[2:3], s18, v10
	s_nop 1
	v_cndmask_b32_e64 v10, 0, -1, s[2:3]
	v_cmp_eq_u32_e64 s[2:3], s19, v5
	s_nop 1
	v_cndmask_b32_e64 v5, v11, v10, s[2:3]
	v_lshl_add_u64 v[10:11], v[8:9], 0, 2
	v_cmp_ne_u32_e64 s[2:3], 0, v5
	s_nop 1
	v_cndmask_b32_e64 v5, v13, v11, s[2:3]
	v_cndmask_b32_e64 v11, 0, -1, vcc
	v_cmp_le_u32_e32 vcc, s18, v14
	s_nop 1
	v_cndmask_b32_e64 v13, 0, -1, vcc
	v_cmp_eq_u32_e32 vcc, s19, v1
	s_nop 1
	v_cndmask_b32_e32 v1, v11, v13, vcc
	v_cmp_ne_u32_e32 vcc, 0, v1
	v_cndmask_b32_e64 v1, v12, v10, s[2:3]
	s_nop 0
	v_cndmask_b32_e32 v9, v9, v5, vcc
	v_cndmask_b32_e32 v8, v8, v1, vcc
.LBB0_4:                                ;   in Loop: Header=BB0_2 Depth=1
	s_andn2_saveexec_b64 s[2:3], s[20:21]
	s_cbranch_execz .LBB0_6
; %bb.5:                                ;   in Loop: Header=BB0_2 Depth=1
	v_cvt_f32_u32_e32 v1, s18
	s_sub_i32 s20, 0, s18
	v_rcp_iflag_f32_e32 v1, v1
	s_nop 0
	v_mul_f32_e32 v1, 0x4f7ffffe, v1
	v_cvt_u32_f32_e32 v1, v1
	v_mul_lo_u32 v5, s20, v1
	v_mul_hi_u32 v5, v1, v5
	v_add_u32_e32 v1, v1, v5
	v_mul_hi_u32 v1, v6, v1
	v_mul_lo_u32 v5, v1, s18
	v_sub_u32_e32 v5, v6, v5
	v_add_u32_e32 v8, 1, v1
	v_subrev_u32_e32 v9, s18, v5
	v_cmp_le_u32_e32 vcc, s18, v5
	s_nop 1
	v_cndmask_b32_e32 v5, v5, v9, vcc
	v_cndmask_b32_e32 v1, v1, v8, vcc
	v_add_u32_e32 v8, 1, v1
	v_cmp_le_u32_e32 vcc, s18, v5
	v_mov_b32_e32 v9, v4
	s_nop 0
	v_cndmask_b32_e32 v8, v1, v8, vcc
.LBB0_6:                                ;   in Loop: Header=BB0_2 Depth=1
	s_or_b64 exec, exec, s[2:3]
	v_mad_u64_u32 v[10:11], s[2:3], v8, s18, 0
	s_load_dwordx2 s[2:3], s[12:13], 0x0
	v_mul_lo_u32 v1, v9, s18
	v_mul_lo_u32 v5, v8, s19
	v_add3_u32 v1, v11, v5, v1
	v_sub_co_u32_e32 v5, vcc, v6, v10
	s_add_u32 s14, s14, 1
	s_nop 0
	v_subb_co_u32_e32 v1, vcc, v7, v1, vcc
	s_addc_u32 s15, s15, 0
	s_waitcnt lgkmcnt(0)
	v_mul_lo_u32 v1, s2, v1
	v_mul_lo_u32 v6, s3, v5
	v_mad_u64_u32 v[2:3], s[2:3], s2, v5, v[2:3]
	s_add_u32 s12, s12, 8
	v_add3_u32 v3, v6, v3, v1
	s_addc_u32 s13, s13, 0
	v_mov_b64_e32 v[6:7], s[6:7]
	s_add_u32 s16, s16, 8
	v_cmp_ge_u64_e32 vcc, s[14:15], v[6:7]
	s_addc_u32 s17, s17, 0
	s_cbranch_vccnz .LBB0_9
; %bb.7:                                ;   in Loop: Header=BB0_2 Depth=1
	v_mov_b64_e32 v[6:7], v[8:9]
	s_branch .LBB0_2
.LBB0_8:
	v_mov_b64_e32 v[8:9], v[6:7]
.LBB0_9:
	s_lshl_b64 s[2:3], s[6:7], 3
	s_add_u32 s2, s10, s2
	s_addc_u32 s3, s11, s3
	s_load_dwordx2 s[6:7], s[2:3], 0x0
	s_load_dwordx2 s[10:11], s[0:1], 0x20
	s_mov_b32 s2, 0x199999a
	v_mov_b32_e32 v45, 0
	s_waitcnt lgkmcnt(0)
	v_mul_lo_u32 v1, s6, v9
	v_mul_lo_u32 v4, s7, v8
	v_mad_u64_u32 v[2:3], s[0:1], s6, v8, v[2:3]
	v_add3_u32 v3, v4, v3, v1
	v_mul_hi_u32 v1, v0, s2
	v_mul_u32_u24_e32 v1, 0xa0, v1
	v_sub_u32_e32 v44, v0, v1
	v_cmp_gt_u64_e64 s[0:1], s[10:11], v[8:9]
	v_lshl_add_u64 v[40:41], v[2:3], 3, s[8:9]
	v_mov_b32_e32 v42, v44
	s_and_saveexec_b64 s[2:3], s[0:1]
	s_cbranch_execz .LBB0_13
; %bb.10:
	v_lshl_add_u64 v[0:1], v[44:45], 3, v[40:41]
	v_add_co_u32_e32 v10, vcc, 0x1000, v0
	global_load_dwordx2 v[2:3], v[0:1], off
	global_load_dwordx2 v[4:5], v[0:1], off offset:1280
	global_load_dwordx2 v[6:7], v[0:1], off offset:2560
	;; [unrolled: 1-line block ×3, first 2 shown]
	v_addc_co_u32_e32 v11, vcc, 0, v1, vcc
	v_add_co_u32_e32 v12, vcc, 0x2000, v0
	s_movk_i32 s6, 0x9f
	s_nop 0
	v_addc_co_u32_e32 v13, vcc, 0, v1, vcc
	global_load_dwordx2 v[14:15], v[10:11], off offset:1024
	global_load_dwordx2 v[16:17], v[10:11], off offset:2304
	;; [unrolled: 1-line block ×4, first 2 shown]
	v_or_b32_e32 v10, 0x500, v44
	v_mov_b32_e32 v11, v45
	v_add_co_u32_e32 v22, vcc, 0x3000, v0
	v_lshl_add_u64 v[10:11], v[10:11], 3, v[40:41]
	s_nop 0
	v_addc_co_u32_e32 v23, vcc, 0, v1, vcc
	global_load_dwordx2 v[24:25], v[22:23], off offset:512
	global_load_dwordx2 v[26:27], v[22:23], off offset:1792
	global_load_dwordx2 v[28:29], v[10:11], off
	global_load_dwordx2 v[30:31], v[12:13], off offset:3328
	v_add_co_u32_e32 v10, vcc, 0x4000, v0
	s_nop 1
	v_addc_co_u32_e32 v11, vcc, 0, v1, vcc
	global_load_dwordx2 v[12:13], v[22:23], off offset:3072
	global_load_dwordx2 v[32:33], v[10:11], off offset:256
	;; [unrolled: 1-line block ×4, first 2 shown]
	v_or_b32_e32 v10, 0xa00, v44
	v_mov_b32_e32 v11, v45
	v_lshl_add_u64 v[10:11], v[10:11], 3, v[40:41]
	v_add_co_u32_e32 v0, vcc, 0x5000, v0
	s_nop 1
	v_addc_co_u32_e32 v1, vcc, 0, v1, vcc
	global_load_dwordx2 v[22:23], v[10:11], off
	global_load_dwordx2 v[38:39], v[0:1], off offset:1280
	global_load_dwordx2 v[42:43], v[0:1], off offset:2560
	;; [unrolled: 1-line block ×3, first 2 shown]
	v_lshl_add_u32 v0, v44, 3, 0
	v_add_u32_e32 v1, 0x800, v0
	v_add_u32_e32 v10, 0x1400, v0
	;; [unrolled: 1-line block ×9, first 2 shown]
	v_cmp_eq_u32_e32 vcc, s6, v44
	s_waitcnt vmcnt(18)
	ds_write2_b64 v0, v[2:3], v[4:5] offset1:160
	s_waitcnt vmcnt(16)
	ds_write2_b64 v1, v[6:7], v[8:9] offset0:64 offset1:224
	s_waitcnt vmcnt(14)
	ds_write2_b64 v10, v[14:15], v[16:17] offset1:160
	s_waitcnt vmcnt(12)
	ds_write2_b64 v11, v[18:19], v[20:21] offset0:64 offset1:224
	s_waitcnt vmcnt(8)
	ds_write2_b64 v48, v[28:29], v[30:31] offset1:160
	ds_write2_b64 v49, v[24:25], v[26:27] offset0:64 offset1:224
	s_waitcnt vmcnt(6)
	ds_write2_b64 v50, v[12:13], v[32:33] offset1:160
	s_waitcnt vmcnt(4)
	ds_write2_b64 v51, v[34:35], v[36:37] offset0:64 offset1:224
	s_waitcnt vmcnt(2)
	ds_write2_b64 v52, v[22:23], v[38:39] offset1:160
	s_waitcnt vmcnt(0)
	ds_write2_b64 v53, v[42:43], v[46:47] offset0:64 offset1:224
	v_mov_b64_e32 v[0:1], v[44:45]
	s_and_saveexec_b64 s[6:7], vcc
	s_cbranch_execz .LBB0_12
; %bb.11:
	v_add_co_u32_e32 v0, vcc, 0x6000, v40
	v_mov_b32_e32 v2, 0
	s_nop 0
	v_addc_co_u32_e32 v1, vcc, 0, v41, vcc
	global_load_dwordx2 v[0:1], v[0:1], off offset:1024
	v_mov_b32_e32 v44, 0x9f
	s_waitcnt vmcnt(0)
	ds_write_b64 v2, v[0:1] offset:25600
	v_mov_b64_e32 v[0:1], 0x9f
.LBB0_12:
	s_or_b64 exec, exec, s[6:7]
	v_mov_b32_e32 v42, v44
	v_mov_b64_e32 v[44:45], v[0:1]
.LBB0_13:
	s_or_b64 exec, exec, s[2:3]
	v_lshlrev_b32_e32 v0, 3, v42
	v_add_u32_e32 v78, 0, v0
	s_waitcnt lgkmcnt(0)
	s_barrier
	v_sub_u32_e32 v4, 0, v0
	ds_read_b32 v0, v78
	ds_read_b32 v1, v4 offset:25600
	s_add_u32 s2, s4, 0x63b0
	s_addc_u32 s3, s5, 0
	v_cmp_ne_u32_e32 vcc, 0, v42
	s_waitcnt lgkmcnt(0)
	v_add_f32_e32 v2, v1, v0
	v_sub_f32_e32 v3, v0, v1
	s_and_saveexec_b64 s[6:7], vcc
	s_xor_b64 s[6:7], exec, s[6:7]
	s_cbranch_execz .LBB0_15
; %bb.14:
	v_lshl_add_u64 v[0:1], v[44:45], 3, s[2:3]
	global_load_dwordx2 v[0:1], v[0:1], off
	ds_read_b32 v5, v4 offset:25604
	ds_read_b32 v9, v78 offset:4
	v_mov_b32_e32 v6, v3
	v_mov_b32_e32 v8, v2
	;; [unrolled: 1-line block ×3, first 2 shown]
	s_waitcnt lgkmcnt(0)
	v_add_f32_e32 v7, v5, v9
	v_sub_f32_e32 v9, v9, v5
	v_mov_b32_e32 v10, v7
	s_waitcnt vmcnt(0)
	v_pk_mul_f32 v[12:13], v[6:7], v[0:1] op_sel:[0,1]
	v_pk_fma_f32 v[6:7], v[6:7], v[0:1], v[8:9] op_sel:[0,1,0]
	v_mov_b32_e32 v3, v13
	v_mov_b32_e32 v13, v9
	v_pk_fma_f32 v[14:15], v[0:1], v[10:11], v[6:7] neg_lo:[1,0,0] neg_hi:[1,0,0]
	v_pk_fma_f32 v[6:7], v[0:1], v[10:11], v[6:7] op_sel_hi:[0,1,1]
	v_pk_add_f32 v[2:3], v[2:3], v[12:13] neg_lo:[0,1] neg_hi:[0,1]
	v_mov_b32_e32 v15, v7
	v_pk_fma_f32 v[0:1], v[0:1], v[10:11], v[2:3] op_sel_hi:[0,1,1]
	ds_write_b64 v4, v[0:1] offset:25600
	v_mov_b64_e32 v[2:3], v[14:15]
.LBB0_15:
	s_andn2_saveexec_b64 s[6:7], s[6:7]
	s_cbranch_execz .LBB0_17
; %bb.16:
	v_mov_b32_e32 v5, 0
	ds_read_b64 v[0:1], v5 offset:12800
	s_mov_b32 s8, 2.0
	s_mov_b32 s9, -2.0
	s_waitcnt lgkmcnt(0)
	v_pk_mul_f32 v[0:1], v[0:1], s[8:9]
	ds_write_b64 v5, v[0:1] offset:12800
.LBB0_17:
	s_or_b64 exec, exec, s[6:7]
	v_mov_b32_e32 v43, 0
	v_lshlrev_b64 v[46:47], 3, v[42:43]
	v_lshl_add_u64 v[0:1], s[2:3], 0, v[46:47]
	global_load_dwordx2 v[6:7], v[0:1], off offset:1280
	v_add_u32_e32 v54, 0x140, v42
	v_mov_b32_e32 v55, v43
	v_lshlrev_b64 v[48:49], 3, v[54:55]
	v_lshl_add_u64 v[8:9], s[2:3], 0, v[48:49]
	global_load_dwordx2 v[8:9], v[8:9], off
	v_add_u32_e32 v56, 0x1e0, v42
	v_mov_b32_e32 v57, v43
	v_lshlrev_b64 v[50:51], 3, v[56:57]
	v_lshl_add_u64 v[10:11], s[2:3], 0, v[50:51]
	global_load_dwordx2 v[10:11], v[10:11], off
	s_movk_i32 s18, 0x1000
	v_add_co_u32_e32 v14, vcc, s18, v0
	ds_write_b64 v78, v[2:3]
	s_nop 0
	v_addc_co_u32_e32 v15, vcc, 0, v1, vcc
	ds_read_b64 v[2:3], v78 offset:1280
	ds_read_b64 v[12:13], v4 offset:24320
	global_load_dwordx2 v[16:17], v[14:15], off offset:1024
	v_lshl_add_u32 v55, v54, 3, 0
	v_lshl_add_u32 v57, v56, 3, 0
	s_movk_i32 s6, 0x2000
	s_waitcnt lgkmcnt(0)
	v_pk_add_f32 v[18:19], v[2:3], v[12:13] neg_lo:[0,1] neg_hi:[0,1]
	v_pk_add_f32 v[2:3], v[2:3], v[12:13]
	v_mov_b32_e32 v12, v18
	v_mov_b32_e32 v13, v3
	;; [unrolled: 1-line block ×6, first 2 shown]
	v_add_co_u32_e32 v0, vcc, s6, v0
	v_add_u32_e32 v79, 0x1400, v78
	s_nop 0
	v_addc_co_u32_e32 v1, vcc, 0, v1, vcc
	v_add_u32_e32 v80, 0x2800, v78
	v_add_u32_e32 v86, 0x3c00, v78
	;; [unrolled: 1-line block ×3, first 2 shown]
	s_mov_b32 s6, 0x3f737871
	v_add_u32_e32 v82, 0x1c00, v78
	v_add_u32_e32 v85, 0x3000, v78
	;; [unrolled: 1-line block ×4, first 2 shown]
	s_mov_b32 s8, 0x3e9e377a
	s_mov_b32 s10, 0x3f4f1bbd
	;; [unrolled: 1-line block ×7, first 2 shown]
	s_waitcnt vmcnt(3)
	v_pk_mul_f32 v[24:25], v[12:13], v[6:7] op_sel:[0,1]
	v_pk_fma_f32 v[12:13], v[12:13], v[6:7], v[20:21] op_sel:[0,1,0]
	v_mov_b32_e32 v3, v25
	v_mov_b32_e32 v25, v19
	v_pk_fma_f32 v[20:21], v[6:7], v[22:23], v[12:13] neg_lo:[1,0,0] neg_hi:[1,0,0]
	v_pk_fma_f32 v[12:13], v[6:7], v[22:23], v[12:13] op_sel_hi:[0,1,1]
	v_pk_add_f32 v[2:3], v[2:3], v[24:25] neg_lo:[0,1] neg_hi:[0,1]
	v_mov_b32_e32 v21, v13
	v_pk_fma_f32 v[2:3], v[6:7], v[22:23], v[2:3] op_sel_hi:[0,1,1]
	ds_write_b64 v78, v[20:21] offset:1280
	ds_write_b64 v4, v[2:3] offset:24320
	ds_read_b64 v[6:7], v4 offset:23040
	ds_read_b64 v[12:13], v55
	global_load_dwordx2 v[2:3], v[14:15], off offset:2304
	s_waitcnt lgkmcnt(0)
	v_pk_add_f32 v[18:19], v[12:13], v[6:7] neg_lo:[0,1] neg_hi:[0,1]
	v_pk_add_f32 v[6:7], v[12:13], v[6:7]
	v_mov_b32_e32 v12, v18
	v_mov_b32_e32 v13, v7
	;; [unrolled: 1-line block ×4, first 2 shown]
	s_waitcnt vmcnt(3)
	v_pk_mul_f32 v[24:25], v[12:13], v[8:9] op_sel:[0,1]
	v_mov_b32_e32 v22, v7
	v_mov_b32_e32 v23, v18
	v_pk_fma_f32 v[12:13], v[12:13], v[8:9], v[20:21] op_sel:[0,1,0]
	v_mov_b32_e32 v7, v25
	v_mov_b32_e32 v25, v19
	v_pk_fma_f32 v[20:21], v[8:9], v[22:23], v[12:13] neg_lo:[1,0,0] neg_hi:[1,0,0]
	v_pk_fma_f32 v[12:13], v[8:9], v[22:23], v[12:13] op_sel_hi:[0,1,1]
	v_pk_add_f32 v[6:7], v[6:7], v[24:25] neg_lo:[0,1] neg_hi:[0,1]
	v_mov_b32_e32 v21, v13
	v_pk_fma_f32 v[6:7], v[8:9], v[22:23], v[6:7] op_sel_hi:[0,1,1]
	ds_write_b64 v55, v[20:21]
	ds_write_b64 v4, v[6:7] offset:23040
	ds_read_b64 v[6:7], v4 offset:21760
	ds_read_b64 v[8:9], v57
	global_load_dwordx2 v[14:15], v[14:15], off offset:3584
	v_or_b32_e32 v12, 0x500, v42
	v_mov_b32_e32 v13, v43
	v_lshlrev_b64 v[52:53], 3, v[12:13]
	s_waitcnt lgkmcnt(0)
	v_pk_add_f32 v[18:19], v[8:9], v[6:7] neg_lo:[0,1] neg_hi:[0,1]
	v_pk_add_f32 v[6:7], v[8:9], v[6:7]
	v_mov_b32_e32 v8, v18
	v_mov_b32_e32 v9, v7
	v_mov_b32_e32 v20, v6
	v_mov_b32_e32 v21, v19
	s_waitcnt vmcnt(3)
	v_pk_mul_f32 v[24:25], v[8:9], v[10:11] op_sel:[0,1]
	v_mov_b32_e32 v22, v7
	v_mov_b32_e32 v23, v18
	v_pk_fma_f32 v[8:9], v[8:9], v[10:11], v[20:21] op_sel:[0,1,0]
	v_mov_b32_e32 v7, v25
	v_mov_b32_e32 v25, v19
	v_pk_fma_f32 v[20:21], v[10:11], v[22:23], v[8:9] neg_lo:[1,0,0] neg_hi:[1,0,0]
	v_pk_fma_f32 v[8:9], v[10:11], v[22:23], v[8:9] op_sel_hi:[0,1,1]
	v_pk_add_f32 v[6:7], v[6:7], v[24:25] neg_lo:[0,1] neg_hi:[0,1]
	v_mov_b32_e32 v21, v9
	v_pk_fma_f32 v[6:7], v[10:11], v[22:23], v[6:7] op_sel_hi:[0,1,1]
	ds_write_b64 v57, v[20:21]
	ds_write_b64 v4, v[6:7] offset:21760
	ds_read_b64 v[6:7], v4 offset:20480
	ds_read_b64 v[8:9], v78 offset:5120
	global_load_dwordx2 v[10:11], v[0:1], off offset:768
	v_lshl_add_u64 v[12:13], s[2:3], 0, v[52:53]
	s_mov_b32 s2, 0x3f167918
	s_mov_b32 s13, s2
	s_waitcnt lgkmcnt(0)
	v_pk_add_f32 v[18:19], v[8:9], v[6:7] neg_lo:[0,1] neg_hi:[0,1]
	v_pk_add_f32 v[6:7], v[8:9], v[6:7]
	v_mov_b32_e32 v8, v18
	v_mov_b32_e32 v9, v7
	;; [unrolled: 1-line block ×4, first 2 shown]
	s_waitcnt vmcnt(3)
	v_pk_mul_f32 v[24:25], v[8:9], v[16:17] op_sel:[0,1]
	v_mov_b32_e32 v22, v7
	v_mov_b32_e32 v23, v18
	v_pk_fma_f32 v[8:9], v[8:9], v[16:17], v[20:21] op_sel:[0,1,0]
	v_mov_b32_e32 v7, v25
	v_mov_b32_e32 v25, v19
	v_pk_fma_f32 v[20:21], v[16:17], v[22:23], v[8:9] neg_lo:[1,0,0] neg_hi:[1,0,0]
	v_pk_fma_f32 v[8:9], v[16:17], v[22:23], v[8:9] op_sel_hi:[0,1,1]
	v_pk_add_f32 v[6:7], v[6:7], v[24:25] neg_lo:[0,1] neg_hi:[0,1]
	v_mov_b32_e32 v21, v9
	v_pk_fma_f32 v[6:7], v[16:17], v[22:23], v[6:7] op_sel_hi:[0,1,1]
	ds_write_b64 v78, v[20:21] offset:5120
	ds_write_b64 v4, v[6:7] offset:20480
	ds_read_b64 v[6:7], v4 offset:19200
	ds_read_b64 v[8:9], v78 offset:6400
	global_load_dwordx2 v[16:17], v[12:13], off
	global_load_dwordx2 v[18:19], v[0:1], off offset:3328
	s_waitcnt lgkmcnt(0)
	v_pk_add_f32 v[0:1], v[8:9], v[6:7] neg_lo:[0,1] neg_hi:[0,1]
	v_pk_add_f32 v[6:7], v[8:9], v[6:7]
	v_mov_b32_e32 v8, v0
	v_mov_b32_e32 v9, v7
	;; [unrolled: 1-line block ×4, first 2 shown]
	s_waitcnt vmcnt(4)
	v_pk_mul_f32 v[22:23], v[8:9], v[2:3] op_sel:[0,1]
	v_mov_b32_e32 v20, v7
	v_mov_b32_e32 v21, v0
	v_pk_fma_f32 v[8:9], v[8:9], v[2:3], v[12:13] op_sel:[0,1,0]
	v_mov_b32_e32 v7, v23
	v_mov_b32_e32 v23, v1
	v_pk_fma_f32 v[12:13], v[2:3], v[20:21], v[8:9] neg_lo:[1,0,0] neg_hi:[1,0,0]
	v_pk_fma_f32 v[8:9], v[2:3], v[20:21], v[8:9] op_sel_hi:[0,1,1]
	v_pk_add_f32 v[0:1], v[6:7], v[22:23] neg_lo:[0,1] neg_hi:[0,1]
	v_mov_b32_e32 v13, v9
	v_pk_fma_f32 v[0:1], v[2:3], v[20:21], v[0:1] op_sel_hi:[0,1,1]
	ds_write_b64 v78, v[12:13] offset:6400
	ds_write_b64 v4, v[0:1] offset:19200
	ds_read_b64 v[0:1], v4 offset:17920
	ds_read_b64 v[2:3], v78 offset:7680
	s_waitcnt lgkmcnt(0)
	v_pk_add_f32 v[6:7], v[2:3], v[0:1] neg_lo:[0,1] neg_hi:[0,1]
	v_pk_add_f32 v[0:1], v[2:3], v[0:1]
	v_mov_b32_e32 v2, v6
	v_mov_b32_e32 v3, v1
	v_mov_b32_e32 v8, v0
	v_mov_b32_e32 v9, v7
	s_waitcnt vmcnt(3)
	v_pk_mul_f32 v[12:13], v[2:3], v[14:15] op_sel:[0,1]
	v_pk_fma_f32 v[2:3], v[2:3], v[14:15], v[8:9] op_sel:[0,1,0]
	v_mov_b32_e32 v8, v1
	v_mov_b32_e32 v9, v6
	v_mov_b32_e32 v1, v13
	v_mov_b32_e32 v13, v7
	v_pk_fma_f32 v[20:21], v[14:15], v[8:9], v[2:3] neg_lo:[1,0,0] neg_hi:[1,0,0]
	v_pk_fma_f32 v[2:3], v[14:15], v[8:9], v[2:3] op_sel_hi:[0,1,1]
	v_pk_add_f32 v[0:1], v[0:1], v[12:13] neg_lo:[0,1] neg_hi:[0,1]
	v_mov_b32_e32 v21, v3
	v_pk_fma_f32 v[0:1], v[14:15], v[8:9], v[0:1] op_sel_hi:[0,1,1]
	ds_write_b64 v78, v[20:21] offset:7680
	ds_write_b64 v4, v[0:1] offset:17920
	ds_read_b64 v[0:1], v4 offset:16640
	ds_read_b64 v[2:3], v78 offset:8960
	s_waitcnt lgkmcnt(0)
	v_pk_add_f32 v[6:7], v[2:3], v[0:1] neg_lo:[0,1] neg_hi:[0,1]
	v_pk_add_f32 v[0:1], v[2:3], v[0:1]
	v_mov_b32_e32 v2, v6
	v_mov_b32_e32 v3, v1
	v_mov_b32_e32 v8, v0
	v_mov_b32_e32 v9, v7
	s_waitcnt vmcnt(2)
	v_pk_mul_f32 v[12:13], v[2:3], v[10:11] op_sel:[0,1]
	v_pk_fma_f32 v[2:3], v[2:3], v[10:11], v[8:9] op_sel:[0,1,0]
	v_mov_b32_e32 v8, v1
	v_mov_b32_e32 v9, v6
	;; [unrolled: 23-line block ×4, first 2 shown]
	v_mov_b32_e32 v1, v11
	v_mov_b32_e32 v11, v7
	v_pk_fma_f32 v[12:13], v[18:19], v[8:9], v[2:3] neg_lo:[1,0,0] neg_hi:[1,0,0]
	v_pk_fma_f32 v[2:3], v[18:19], v[8:9], v[2:3] op_sel_hi:[0,1,1]
	v_pk_add_f32 v[0:1], v[0:1], v[10:11] neg_lo:[0,1] neg_hi:[0,1]
	v_mov_b32_e32 v13, v3
	v_pk_fma_f32 v[0:1], v[18:19], v[8:9], v[0:1] op_sel_hi:[0,1,1]
	ds_write_b64 v78, v[12:13] offset:11520
	ds_write_b64 v4, v[0:1] offset:14080
	s_waitcnt lgkmcnt(0)
	s_barrier
	s_barrier
	ds_read2_b64 v[8:11], v79 offset1:160
	ds_read2_b64 v[12:15], v80 offset1:160
	ds_read2_b64 v[16:19], v86 offset1:160
	ds_read2_b64 v[20:23], v81 offset1:160
	ds_read2_b64 v[0:3], v78 offset1:160
	ds_read2_b64 v[4:7], v82 offset0:64 offset1:224
	s_waitcnt lgkmcnt(4)
	v_pk_add_f32 v[28:29], v[8:9], v[12:13] neg_lo:[0,1] neg_hi:[0,1]
	s_waitcnt lgkmcnt(3)
	v_pk_add_f32 v[24:25], v[12:13], v[16:17]
	s_waitcnt lgkmcnt(2)
	v_pk_add_f32 v[74:75], v[8:9], v[20:21] neg_lo:[0,1] neg_hi:[0,1]
	s_waitcnt lgkmcnt(1)
	v_pk_fma_f32 v[24:25], v[24:25], 0.5, v[0:1] op_sel_hi:[1,0,1] neg_lo:[1,0,0] neg_hi:[1,0,0]
	v_pk_mul_f32 v[26:27], v[74:75], s[6:7] op_sel_hi:[1,0]
	v_pk_add_f32 v[76:77], v[12:13], v[16:17] neg_lo:[0,1] neg_hi:[0,1]
	v_pk_add_f32 v[30:31], v[20:21], v[16:17] neg_lo:[0,1] neg_hi:[0,1]
	v_pk_add_f32 v[36:37], v[24:25], v[26:27] op_sel:[0,1] op_sel_hi:[1,0] neg_lo:[0,1] neg_hi:[0,1]
	v_pk_add_f32 v[24:25], v[24:25], v[26:27] op_sel:[0,1] op_sel_hi:[1,0]
	v_pk_mul_f32 v[38:39], v[76:77], s[2:3] op_sel_hi:[1,0]
	v_pk_add_f32 v[58:59], v[28:29], v[30:31]
	v_pk_add_f32 v[60:61], v[24:25], v[38:39] op_sel:[0,1] op_sel_hi:[1,0]
	ds_read2_b64 v[24:27], v85 offset0:64 offset1:224
	ds_read2_b64 v[32:35], v84 offset0:64 offset1:224
	ds_read2_b64 v[28:31], v83 offset0:64 offset1:224
	v_pk_add_f32 v[62:63], v[36:37], v[38:39] op_sel:[0,1] op_sel_hi:[1,0] neg_lo:[0,1] neg_hi:[0,1]
	v_add_u32_e32 v36, 0x800, v78
	ds_read2_b64 v[36:39], v36 offset0:64 offset1:224
	s_waitcnt lgkmcnt(3)
	v_pk_add_f32 v[64:65], v[4:5], v[24:25] neg_lo:[0,1] neg_hi:[0,1]
	s_waitcnt lgkmcnt(1)
	v_pk_add_f32 v[66:67], v[28:29], v[32:33] neg_lo:[0,1] neg_hi:[0,1]
	v_pk_add_f32 v[68:69], v[4:5], v[28:29] neg_lo:[0,1] neg_hi:[0,1]
	v_pk_add_f32 v[64:65], v[64:65], v[66:67]
	v_pk_add_f32 v[66:67], v[24:25], v[32:33]
	v_pk_mul_f32 v[70:71], v[68:69], s[6:7] op_sel_hi:[1,0]
	s_waitcnt lgkmcnt(0)
	v_pk_fma_f32 v[66:67], v[66:67], 0.5, v[36:37] op_sel_hi:[1,0,1] neg_lo:[1,0,0] neg_hi:[1,0,0]
	v_pk_add_f32 v[92:93], v[10:11], v[22:23] neg_lo:[0,1] neg_hi:[0,1]
	v_pk_add_f32 v[72:73], v[66:67], v[70:71] op_sel:[0,1] op_sel_hi:[1,0]
	v_pk_add_f32 v[66:67], v[66:67], v[70:71] op_sel:[0,1] op_sel_hi:[1,0] neg_lo:[0,1] neg_hi:[0,1]
	v_pk_add_f32 v[70:71], v[24:25], v[32:33] neg_lo:[0,1] neg_hi:[0,1]
	v_pk_mul_f32 v[100:101], v[74:75], s[2:3] op_sel_hi:[1,0]
	v_pk_mul_f32 v[88:89], v[70:71], s[2:3] op_sel_hi:[1,0]
	v_pk_add_f32 v[104:105], v[14:15], v[18:19] neg_lo:[0,1] neg_hi:[0,1]
	v_pk_add_f32 v[90:91], v[88:89], v[72:73] op_sel:[1,0] op_sel_hi:[0,1]
	v_pk_add_f32 v[66:67], v[66:67], v[88:89] op_sel:[0,1] op_sel_hi:[1,0] neg_lo:[0,1] neg_hi:[0,1]
	v_pk_add_f32 v[72:73], v[10:11], v[14:15] neg_lo:[0,1] neg_hi:[0,1]
	v_pk_add_f32 v[88:89], v[22:23], v[18:19] neg_lo:[0,1] neg_hi:[0,1]
	v_pk_fma_f32 v[98:99], v[64:65], s[8:9], v[90:91] op_sel_hi:[1,0,1]
	v_pk_add_f32 v[72:73], v[72:73], v[88:89]
	v_pk_mul_f32 v[88:89], v[76:77], s[6:7] op_sel_hi:[1,0]
	s_mov_b32 s7, s8
	v_pk_add_f32 v[76:77], v[14:15], v[18:19]
	v_pk_mul_f32 v[94:95], v[92:93], s[6:7] op_sel_hi:[1,0]
	v_pk_fma_f32 v[76:77], v[76:77], 0.5, v[2:3] op_sel_hi:[1,0,1] neg_lo:[1,0,0] neg_hi:[1,0,0]
	v_mov_b32_e32 v90, v66
	v_pk_add_f32 v[96:97], v[76:77], v[94:95] op_sel:[0,1] op_sel_hi:[1,0] neg_lo:[0,1] neg_hi:[0,1]
	v_pk_add_f32 v[76:77], v[76:77], v[94:95] op_sel:[0,1] op_sel_hi:[1,0]
	v_mov_b32_e32 v94, v62
	v_mov_b32_e32 v95, v61
	v_pk_fma_f32 v[94:95], v[58:59], s[8:9], v[94:95] op_sel_hi:[1,0,1]
	s_mov_b32 s9, s2
	v_pk_fma_f32 v[90:91], v[64:65], s[8:9], v[90:91] op_sel_hi:[1,0,1]
	v_pk_add_f32 v[108:109], v[6:7], v[30:31] neg_lo:[0,1] neg_hi:[0,1]
	v_pk_mul_f32 v[102:103], v[90:91], s[2:3] op_sel_hi:[1,0]
	s_mov_b32 s3, s10
	v_pk_mul_f32 v[106:107], v[104:105], s[2:3] op_sel_hi:[1,0]
	v_pk_mul_f32 v[110:111], v[108:109], s[6:7] op_sel_hi:[1,0]
	v_pk_add_f32 v[74:75], v[76:77], v[106:107] op_sel:[0,1] op_sel_hi:[1,0]
	v_pk_add_f32 v[76:77], v[96:97], v[106:107] op_sel:[0,1] op_sel_hi:[1,0] neg_lo:[0,1] neg_hi:[0,1]
	v_pk_add_f32 v[96:97], v[6:7], v[26:27] neg_lo:[0,1] neg_hi:[0,1]
	v_pk_add_f32 v[106:107], v[30:31], v[34:35] neg_lo:[0,1] neg_hi:[0,1]
	v_mov_b32_e32 v120, v76
	v_pk_add_f32 v[96:97], v[96:97], v[106:107]
	v_pk_add_f32 v[106:107], v[26:27], v[34:35]
	v_mov_b32_e32 v121, v75
	v_pk_fma_f32 v[106:107], v[106:107], 0.5, v[38:39] op_sel_hi:[1,0,1] neg_lo:[1,0,0] neg_hi:[1,0,0]
	v_pk_fma_f32 v[120:121], v[72:73], s[8:9], v[120:121] op_sel_hi:[1,0,1]
	v_pk_add_f32 v[112:113], v[106:107], v[110:111] op_sel:[0,1] op_sel_hi:[1,0]
	v_pk_add_f32 v[106:107], v[106:107], v[110:111] op_sel:[0,1] op_sel_hi:[1,0] neg_lo:[0,1] neg_hi:[0,1]
	v_pk_add_f32 v[110:111], v[26:27], v[34:35] neg_lo:[0,1] neg_hi:[0,1]
	s_nop 0
	v_pk_mul_f32 v[114:115], v[110:111], s[2:3] op_sel_hi:[1,0]
	s_barrier
	v_pk_add_f32 v[112:113], v[114:115], v[112:113] op_sel:[1,0] op_sel_hi:[0,1]
	v_pk_add_f32 v[106:107], v[106:107], v[114:115] op_sel:[0,1] op_sel_hi:[1,0] neg_lo:[0,1] neg_hi:[0,1]
	v_pk_fma_f32 v[114:115], v[96:97], s[8:9], v[112:113] op_sel_hi:[1,0,1]
	v_mov_b32_e32 v112, v106
	v_pk_fma_f32 v[112:113], v[96:97], s[8:9], v[112:113] op_sel_hi:[1,0,1]
	s_nop 0
	v_pk_mul_f32 v[116:117], v[112:113], s[2:3] op_sel_hi:[1,0]
	s_nop 0
	v_pk_fma_f32 v[118:119], v[112:113], s[10:11], v[116:117] op_sel:[0,0,1] op_sel_hi:[1,0,0] neg_lo:[0,0,1] neg_hi:[0,0,1]
	v_pk_fma_f32 v[112:113], v[112:113], s[10:11], v[116:117] op_sel:[0,0,1] op_sel_hi:[1,0,0]
	v_pk_add_f32 v[116:117], v[38:39], v[6:7]
	v_mov_b32_e32 v119, v113
	v_pk_add_f32 v[112:113], v[2:3], v[10:11]
	v_pk_add_f32 v[116:117], v[116:117], v[26:27]
	;; [unrolled: 1-line block ×3, first 2 shown]
	s_movk_i32 s11, 0x48
	v_pk_add_f32 v[112:113], v[112:113], v[18:19]
	v_pk_add_f32 v[116:117], v[116:117], v[34:35]
	;; [unrolled: 1-line block ×4, first 2 shown]
	v_mad_u32_u24 v62, v42, s11, v78
	v_add_u32_e32 v61, 0x3200, v62
	v_pk_add_f32 v[122:123], v[112:113], v[116:117]
	v_pk_add_f32 v[124:125], v[120:121], v[118:119]
	v_pk_add_f32 v[14:15], v[14:15], v[10:11] neg_lo:[0,1] neg_hi:[0,1]
	v_pk_add_f32 v[10:11], v[10:11], v[22:23]
	v_pk_add_f32 v[18:19], v[18:19], v[22:23] neg_lo:[0,1] neg_hi:[0,1]
	v_pk_add_f32 v[22:23], v[4:5], v[28:29]
	ds_write2_b64 v61, v[122:123], v[124:125] offset1:1
	v_fma_f32 v61, -0.5, v22, v36
	v_fma_f32 v75, -0.5, v23, v37
	v_pk_add_f32 v[22:23], v[6:7], v[30:31]
	v_pk_add_f32 v[122:123], v[0:1], v[8:9]
	v_fma_f32 v76, -0.5, v22, v38
	v_fma_f32 v87, -0.5, v23, v39
	v_pk_add_f32 v[22:23], v[36:37], v[4:5]
	v_pk_add_f32 v[122:123], v[122:123], v[12:13]
	v_pk_add_f32 v[22:23], v[22:23], v[24:25]
	v_mov_b32_e32 v36, v25
	v_mov_b32_e32 v25, v32
	v_pk_add_f32 v[22:23], v[22:23], v[32:33]
	v_mov_b32_e32 v32, v5
	v_mov_b32_e32 v5, v28
	v_pk_add_f32 v[122:123], v[122:123], v[16:17]
	v_mov_b32_e32 v38, v27
	v_mov_b32_e32 v37, v33
	;; [unrolled: 1-line block ×5, first 2 shown]
	v_pk_add_f32 v[22:23], v[22:23], v[28:29]
	v_mov_b32_e32 v33, v29
	v_mov_b32_e32 v7, v30
	;; [unrolled: 1-line block ×3, first 2 shown]
	v_pk_fma_f32 v[28:29], v[90:91], s[10:11], v[102:103] op_sel:[0,0,1] op_sel_hi:[1,0,0] neg_lo:[0,0,1] neg_hi:[0,0,1]
	v_pk_fma_f32 v[30:31], v[90:91], s[10:11], v[102:103] op_sel:[0,0,1] op_sel_hi:[1,0,0]
	v_pk_add_f32 v[4:5], v[24:25], v[4:5] neg_lo:[0,1] neg_hi:[0,1]
	v_pk_add_f32 v[12:13], v[12:13], v[8:9] neg_lo:[0,1] neg_hi:[0,1]
	v_pk_add_f32 v[8:9], v[8:9], v[20:21]
	v_pk_add_f32 v[16:17], v[16:17], v[20:21] neg_lo:[0,1] neg_hi:[0,1]
	v_pk_add_f32 v[20:21], v[122:123], v[20:21]
	v_mov_b32_e32 v29, v31
	v_mov_b32_e32 v24, v5
	v_pk_add_f32 v[30:31], v[20:21], v[22:23]
	v_pk_add_f32 v[90:91], v[94:95], v[28:29]
	;; [unrolled: 1-line block ×3, first 2 shown]
	v_pk_add_f32 v[24:25], v[36:37], v[32:33] neg_lo:[0,1] neg_hi:[0,1]
	ds_write2_b64 v62, v[30:31], v[90:91] offset1:1
	v_mov_b32_e32 v30, v25
	v_pk_add_f32 v[24:25], v[24:25], v[30:31]
	v_mov_b32_e32 v5, v69
	v_mov_b32_e32 v25, v68
	v_fmamk_f32 v30, v71, 0x3f737871, v61
	v_fmac_f32_e32 v61, 0xbf737871, v71
	v_pk_mul_f32 v[4:5], v[4:5], s[8:9]
	v_fmamk_f32 v31, v70, 0xbf737871, v75
	v_fmac_f32_e32 v75, 0x3f737871, v70
	v_pk_add_f32 v[12:13], v[12:13], v[16:17]
	v_sub_f32_e32 v30, v30, v5
	v_pk_mul_f32 v[16:17], v[24:25], s[8:9]
	v_add_f32_e32 v5, v5, v61
	v_pk_fma_f32 v[0:1], v[8:9], 0.5, v[0:1] op_sel_hi:[1,0,1] neg_lo:[1,0,0] neg_hi:[1,0,0]
	v_add_f32_e32 v24, v17, v31
	v_add_f32_e32 v30, v4, v30
	;; [unrolled: 1-line block ×3, first 2 shown]
	v_sub_f32_e32 v5, v75, v17
	v_pk_add_f32 v[8:9], v[0:1], v[88:89] op_sel:[0,1] op_sel_hi:[1,0]
	v_pk_add_f32 v[0:1], v[0:1], v[88:89] op_sel:[0,1] op_sel_hi:[1,0] neg_lo:[0,1] neg_hi:[0,1]
	v_add_f32_e32 v24, v16, v24
	v_add_f32_e32 v16, v16, v5
	v_pk_add_f32 v[0:1], v[0:1], v[100:101] op_sel:[0,1] op_sel_hi:[1,0]
	v_pk_add_f32 v[8:9], v[8:9], v[100:101] op_sel:[0,1] op_sel_hi:[1,0] neg_lo:[0,1] neg_hi:[0,1]
	v_pk_mul_f32 v[24:25], v[24:25], s[6:7] op_sel_hi:[0,1]
	v_pk_mul_f32 v[16:17], v[16:17], s[6:7] op_sel_hi:[0,1]
	v_pk_fma_f32 v[32:33], v[30:31], s[16:17], v[24:25] neg_lo:[0,0,1] neg_hi:[0,0,1]
	v_pk_fma_f32 v[24:25], v[30:31], s[16:17], v[24:25] op_sel_hi:[0,1,1]
	v_pk_fma_f32 v[4:5], v[4:5], s[14:15], v[16:17] op_sel_hi:[0,1,1] neg_lo:[0,0,1] neg_hi:[0,0,1]
	v_mov_b32_e32 v16, v8
	v_mov_b32_e32 v17, v1
	;; [unrolled: 1-line block ×4, first 2 shown]
	v_pk_fma_f32 v[8:9], v[12:13], s[8:9], v[16:17] op_sel_hi:[1,0,1]
	v_pk_fma_f32 v[0:1], v[12:13], s[8:9], v[0:1] op_sel_hi:[1,0,1]
	v_pk_add_f32 v[12:13], v[8:9], v[32:33]
	v_pk_add_f32 v[16:17], v[0:1], v[4:5]
	ds_write2_b64 v62, v[12:13], v[16:17] offset0:2 offset1:3
	v_pk_fma_f32 v[12:13], v[64:65], s[8:9], v[66:67] op_sel_hi:[1,0,1]
	v_mov_b32_e32 v61, v63
	v_pk_mul_f32 v[12:13], v[12:13], s[2:3] op_sel:[1,0]
	v_pk_fma_f32 v[16:17], v[58:59], s[8:9], v[60:61] op_sel_hi:[1,0,1]
	v_pk_fma_f32 v[12:13], v[98:99], s[12:13], v[12:13] op_sel_hi:[0,1,1] neg_lo:[0,0,1] neg_hi:[0,0,1]
	v_pk_add_f32 v[0:1], v[0:1], v[4:5] neg_lo:[0,1] neg_hi:[0,1]
	v_pk_add_f32 v[4:5], v[16:17], v[12:13] neg_lo:[0,1] neg_hi:[0,1]
	ds_write2_b64 v62, v[0:1], v[4:5] offset0:8 offset1:9
	v_pk_fma_f32 v[0:1], v[10:11], 0.5, v[2:3] op_sel_hi:[1,0,1] neg_lo:[1,0,0] neg_hi:[1,0,0]
	v_pk_add_f32 v[2:3], v[26:27], v[6:7] neg_lo:[0,1] neg_hi:[0,1]
	v_pk_add_f32 v[20:21], v[20:21], v[22:23] neg_lo:[0,1] neg_hi:[0,1]
	v_mov_b32_e32 v4, v3
	v_pk_add_f32 v[2:3], v[2:3], v[4:5]
	v_pk_add_f32 v[4:5], v[38:39], v[34:35] neg_lo:[0,1] neg_hi:[0,1]
	v_pk_add_f32 v[22:23], v[16:17], v[12:13]
	v_mov_b32_e32 v6, v5
	v_pk_add_f32 v[4:5], v[4:5], v[6:7]
	v_mov_b32_e32 v3, v109
	ds_write2_b64 v62, v[22:23], v[20:21] offset0:4 offset1:5
	v_pk_add_f32 v[20:21], v[94:95], v[28:29] neg_lo:[0,1] neg_hi:[0,1]
	v_pk_add_f32 v[8:9], v[8:9], v[32:33] neg_lo:[0,1] neg_hi:[0,1]
	v_mov_b32_e32 v5, v108
	v_fmamk_f32 v16, v111, 0x3f737871, v76
	v_fmac_f32_e32 v76, 0xbf737871, v111
	v_pk_mul_f32 v[10:11], v[104:105], s[6:7] op_sel_hi:[1,0]
	v_pk_mul_f32 v[2:3], v[2:3], s[8:9]
	ds_write2_b64 v62, v[20:21], v[8:9] offset0:6 offset1:7
	v_fmamk_f32 v17, v110, 0xbf737871, v87
	v_fmac_f32_e32 v87, 0x3f737871, v110
	v_pk_add_f32 v[8:9], v[14:15], v[18:19]
	v_pk_add_f32 v[12:13], v[0:1], v[10:11] op_sel:[0,1] op_sel_hi:[1,0]
	v_pk_add_f32 v[0:1], v[0:1], v[10:11] op_sel:[0,1] op_sel_hi:[1,0] neg_lo:[0,1] neg_hi:[0,1]
	v_pk_mul_f32 v[10:11], v[92:93], s[2:3] op_sel_hi:[1,0]
	v_sub_f32_e32 v14, v16, v3
	v_pk_mul_f32 v[4:5], v[4:5], s[8:9]
	v_add_f32_e32 v3, v3, v76
	v_pk_add_f32 v[0:1], v[0:1], v[10:11] op_sel:[0,1] op_sel_hi:[1,0]
	v_pk_add_f32 v[10:11], v[12:13], v[10:11] op_sel:[0,1] op_sel_hi:[1,0] neg_lo:[0,1] neg_hi:[0,1]
	v_add_f32_e32 v12, v5, v17
	v_add_f32_e32 v14, v2, v14
	;; [unrolled: 1-line block ×3, first 2 shown]
	v_sub_f32_e32 v3, v87, v5
	v_add_f32_e32 v12, v4, v12
	v_add_f32_e32 v4, v4, v3
	v_pk_mul_f32 v[12:13], v[12:13], s[6:7] op_sel_hi:[0,1]
	v_pk_mul_f32 v[4:5], v[4:5], s[6:7] op_sel_hi:[0,1]
	v_pk_fma_f32 v[16:17], v[14:15], s[16:17], v[12:13] neg_lo:[0,0,1] neg_hi:[0,0,1]
	v_pk_fma_f32 v[12:13], v[14:15], s[16:17], v[12:13] op_sel_hi:[0,1,1]
	v_pk_fma_f32 v[2:3], v[2:3], s[14:15], v[4:5] op_sel_hi:[0,1,1] neg_lo:[0,0,1] neg_hi:[0,0,1]
	v_mov_b32_e32 v4, v10
	v_mov_b32_e32 v5, v1
	;; [unrolled: 1-line block ×3, first 2 shown]
	v_pk_fma_f32 v[6:7], v[96:97], s[8:9], v[106:107] op_sel_hi:[1,0,1]
	v_mov_b32_e32 v17, v13
	v_pk_fma_f32 v[4:5], v[8:9], s[8:9], v[4:5] op_sel_hi:[1,0,1]
	v_pk_fma_f32 v[0:1], v[8:9], s[8:9], v[0:1] op_sel_hi:[1,0,1]
	v_add_u32_e32 v12, 0x3210, v62
	v_pk_add_f32 v[10:11], v[4:5], v[16:17]
	v_pk_add_f32 v[8:9], v[0:1], v[2:3]
	v_mov_b32_e32 v75, v77
	v_pk_mul_f32 v[6:7], v[6:7], s[2:3] op_sel:[1,0]
	ds_write2_b64 v12, v[10:11], v[8:9] offset1:1
	v_pk_fma_f32 v[8:9], v[72:73], s[8:9], v[74:75] op_sel_hi:[1,0,1]
	v_pk_fma_f32 v[6:7], v[114:115], s[12:13], v[6:7] op_sel_hi:[0,1,1] neg_lo:[0,0,1] neg_hi:[0,0,1]
	v_add_u32_e32 v14, 0x3220, v62
	v_pk_add_f32 v[10:11], v[8:9], v[6:7]
	v_pk_add_f32 v[12:13], v[112:113], v[116:117] neg_lo:[0,1] neg_hi:[0,1]
	ds_write2_b64 v14, v[10:11], v[12:13] offset1:1
	v_add_u32_e32 v12, 0x3230, v62
	v_pk_add_f32 v[10:11], v[120:121], v[118:119] neg_lo:[0,1] neg_hi:[0,1]
	v_pk_add_f32 v[4:5], v[4:5], v[16:17] neg_lo:[0,1] neg_hi:[0,1]
	ds_write2_b64 v12, v[10:11], v[4:5] offset1:1
	v_add_u32_e32 v4, 0x3240, v62
	v_pk_add_f32 v[0:1], v[0:1], v[2:3] neg_lo:[0,1] neg_hi:[0,1]
	v_pk_add_f32 v[2:3], v[8:9], v[6:7] neg_lo:[0,1] neg_hi:[0,1]
	s_movk_i32 s11, 0xcd
	ds_write2_b64 v4, v[0:1], v[2:3] offset1:1
	v_mul_lo_u16_sdwa v0, v42, s11 dst_sel:DWORD dst_unused:UNUSED_PAD src0_sel:BYTE_0 src1_sel:DWORD
	v_lshrrev_b16_e32 v28, 11, v0
	v_add_u32_e32 v25, 0xa0, v42
	v_mul_lo_u16_e32 v0, 10, v28
	s_mov_b32 s11, 0xcccd
	v_sub_u16_e32 v29, v42, v0
	v_mul_u32_u24_sdwa v0, v25, s11 dst_sel:DWORD dst_unused:UNUSED_PAD src0_sel:WORD_0 src1_sel:DWORD
	v_lshrrev_b32_e32 v26, 19, v0
	v_mul_lo_u16_e32 v0, 10, v26
	v_sub_u16_e32 v27, v25, v0
	v_mul_u32_u24_e32 v0, 9, v27
	v_lshlrev_b32_e32 v30, 3, v0
	s_waitcnt lgkmcnt(0)
	s_barrier
	global_load_dwordx4 v[0:3], v30, s[4:5]
	v_mov_b32_e32 v4, 9
	v_mul_u32_u24_sdwa v4, v29, v4 dst_sel:DWORD dst_unused:UNUSED_PAD src0_sel:BYTE_0 src1_sel:DWORD
	v_lshlrev_b32_e32 v20, 3, v4
	global_load_dwordx4 v[4:7], v20, s[4:5]
	global_load_dwordx4 v[8:11], v20, s[4:5] offset:16
	global_load_dwordx4 v[12:15], v30, s[4:5] offset:16
	;; [unrolled: 1-line block ×6, first 2 shown]
	global_load_dwordx2 v[70:71], v20, s[4:5] offset:64
	v_add_u32_e32 v20, 0xe00, v78
	ds_read2_b64 v[62:65], v20 offset0:32 offset1:192
	ds_read_b64 v[66:67], v55
	v_add_u32_e32 v24, 0x1800, v78
	s_mov_b32 s11, s2
	s_waitcnt vmcnt(8) lgkmcnt(1)
	v_pk_mul_f32 v[22:23], v[62:63], v[0:1] op_sel:[0,1]
	s_nop 0
	v_pk_fma_f32 v[20:21], v[62:63], v[0:1], v[22:23] op_sel:[0,0,1] op_sel_hi:[1,0,0]
	v_pk_fma_f32 v[0:1], v[62:63], v[0:1], v[22:23] op_sel:[0,0,1] op_sel_hi:[1,0,0] neg_lo:[0,0,1] neg_hi:[0,0,1]
	s_waitcnt vmcnt(7)
	v_pk_mul_f32 v[62:63], v[6:7], v[64:65] op_sel:[0,1]
	v_mov_b32_e32 v0, v3
	v_pk_fma_f32 v[22:23], v[6:7], v[64:65], v[62:63] op_sel:[0,0,1] op_sel_hi:[1,1,0]
	v_pk_fma_f32 v[72:73], v[6:7], v[64:65], v[62:63] op_sel:[0,0,1] op_sel_hi:[1,0,0] neg_lo:[1,0,0] neg_hi:[1,0,0]
	ds_read2_b64 v[62:65], v24 offset0:32 offset1:192
	ds_read_b64 v[74:75], v78 offset:24320
	global_load_dwordx2 v[30:31], v30, s[4:5] offset:64
	s_waitcnt lgkmcnt(2)
	v_pk_mul_f32 v[6:7], v[4:5], v[66:67] op_sel:[0,1]
	v_mov_b32_e32 v23, v73
	v_pk_fma_f32 v[76:77], v[4:5], v[66:67], v[6:7] op_sel:[0,0,1] op_sel_hi:[1,0,0]
	v_pk_fma_f32 v[88:89], v[4:5], v[66:67], v[6:7] op_sel:[0,0,1] op_sel_hi:[1,0,0] neg_lo:[1,0,0] neg_hi:[1,0,0]
	s_waitcnt lgkmcnt(1)
	v_pk_mul_f32 v[6:7], v[62:63], v[0:1] op_sel_hi:[1,0]
	v_add_u32_e32 v0, 0x2200, v78
	ds_read2_b64 v[66:69], v0 offset0:32 offset1:192
	v_pk_fma_f32 v[4:5], v[62:63], v[2:3], v[6:7] op_sel:[0,0,1] op_sel_hi:[1,1,0]
	v_pk_fma_f32 v[62:63], v[62:63], v[2:3], v[6:7] op_sel:[0,0,1] op_sel_hi:[1,0,0] neg_lo:[0,0,1] neg_hi:[0,0,1]
	s_waitcnt vmcnt(7)
	v_pk_mul_f32 v[2:3], v[8:9], v[64:65] op_sel:[0,1]
	v_mov_b32_e32 v0, v11
	v_pk_fma_f32 v[90:91], v[8:9], v[64:65], v[2:3] op_sel:[0,0,1] op_sel_hi:[1,1,0]
	v_pk_fma_f32 v[64:65], v[8:9], v[64:65], v[2:3] op_sel:[0,0,1] op_sel_hi:[1,0,0] neg_lo:[1,0,0] neg_hi:[1,0,0]
	s_waitcnt lgkmcnt(0)
	v_pk_mul_f32 v[2:3], v[68:69], v[0:1] op_sel_hi:[1,0]
	v_add_u32_e32 v0, 0x2c00, v78
	v_pk_fma_f32 v[92:93], v[68:69], v[10:11], v[2:3] op_sel:[0,0,1] op_sel_hi:[1,1,0]
	v_pk_fma_f32 v[68:69], v[68:69], v[10:11], v[2:3] op_sel:[0,0,1] op_sel_hi:[1,0,0] neg_lo:[0,0,1] neg_hi:[0,0,1]
	ds_read2_b64 v[8:11], v0 offset0:32 offset1:192
	s_waitcnt vmcnt(6)
	v_pk_mul_f32 v[2:3], v[66:67], v[12:13] op_sel:[0,1]
	v_mov_b32_e32 v0, v15
	v_pk_fma_f32 v[6:7], v[66:67], v[12:13], v[2:3] op_sel:[0,0,1] op_sel_hi:[1,1,0]
	v_pk_fma_f32 v[66:67], v[66:67], v[12:13], v[2:3] op_sel:[0,0,1] op_sel_hi:[1,0,0] neg_lo:[0,0,1] neg_hi:[0,0,1]
	s_waitcnt lgkmcnt(0)
	v_pk_mul_f32 v[12:13], v[8:9], v[0:1] op_sel_hi:[1,0]
	v_add_u32_e32 v0, 0x3600, v78
	v_pk_fma_f32 v[2:3], v[8:9], v[14:15], v[12:13] op_sel:[0,0,1] op_sel_hi:[1,1,0]
	v_pk_fma_f32 v[94:95], v[8:9], v[14:15], v[12:13] op_sel:[0,0,1] op_sel_hi:[1,0,0] neg_lo:[0,0,1] neg_hi:[0,0,1]
	ds_read2_b64 v[12:15], v0 offset0:32 offset1:192
	s_waitcnt vmcnt(5)
	v_pk_mul_f32 v[8:9], v[10:11], v[16:17] op_sel:[0,1]
	v_mov_b32_e32 v0, v19
	v_pk_fma_f32 v[96:97], v[10:11], v[16:17], v[8:9] op_sel:[0,0,1] op_sel_hi:[1,1,0]
	v_pk_fma_f32 v[98:99], v[10:11], v[16:17], v[8:9] op_sel:[0,0,1] op_sel_hi:[1,0,0] neg_lo:[0,0,1] neg_hi:[0,0,1]
	s_waitcnt lgkmcnt(0)
	v_pk_mul_f32 v[8:9], v[14:15], v[0:1] op_sel_hi:[1,0]
	s_waitcnt vmcnt(4)
	v_mov_b32_e32 v0, v35
	v_pk_fma_f32 v[100:101], v[14:15], v[18:19], v[8:9] op_sel:[0,0,1] op_sel_hi:[1,1,0]
	v_pk_fma_f32 v[14:15], v[14:15], v[18:19], v[8:9] op_sel:[0,0,1] op_sel_hi:[1,0,0] neg_lo:[0,0,1] neg_hi:[0,0,1]
	v_pk_mul_f32 v[8:9], v[12:13], v[32:33] op_sel:[0,1]
	v_add_u32_e32 v14, 0x4000, v78
	ds_read2_b64 v[16:19], v14 offset0:32 offset1:192
	v_pk_fma_f32 v[102:103], v[12:13], v[32:33], v[8:9] op_sel:[0,0,1] op_sel_hi:[1,1,0]
	v_pk_fma_f32 v[32:33], v[12:13], v[32:33], v[8:9] op_sel:[0,0,1] op_sel_hi:[1,0,0] neg_lo:[0,0,1] neg_hi:[0,0,1]
	v_mov_b32_e32 v93, v69
	v_mov_b32_e32 v68, v96
	s_waitcnt lgkmcnt(0)
	v_pk_mul_f32 v[10:11], v[16:17], v[0:1] op_sel_hi:[1,0]
	v_add_u32_e32 v0, 0x4a00, v78
	v_pk_fma_f32 v[8:9], v[16:17], v[34:35], v[10:11] op_sel:[0,0,1] op_sel_hi:[1,1,0]
	v_pk_fma_f32 v[34:35], v[16:17], v[34:35], v[10:11] op_sel:[0,0,1] op_sel_hi:[1,0,0] neg_lo:[0,0,1] neg_hi:[0,0,1]
	ds_read2_b64 v[10:13], v0 offset0:32 offset1:192
	s_waitcnt vmcnt(3)
	v_pk_mul_f32 v[16:17], v[18:19], v[36:37] op_sel:[0,1]
	v_mov_b32_e32 v0, v39
	v_pk_fma_f32 v[104:105], v[18:19], v[36:37], v[16:17] op_sel:[0,0,1] op_sel_hi:[1,1,0]
	v_pk_fma_f32 v[36:37], v[18:19], v[36:37], v[16:17] op_sel:[0,0,1] op_sel_hi:[1,0,0] neg_lo:[0,0,1] neg_hi:[0,0,1]
	s_waitcnt lgkmcnt(0)
	v_pk_mul_f32 v[16:17], v[12:13], v[0:1] op_sel_hi:[1,0]
	v_add_u32_e32 v0, 0x5400, v78
	v_pk_fma_f32 v[106:107], v[12:13], v[38:39], v[16:17] op_sel:[0,0,1] op_sel_hi:[1,1,0]
	v_pk_fma_f32 v[38:39], v[12:13], v[38:39], v[16:17] op_sel:[0,0,1] op_sel_hi:[1,0,0] neg_lo:[0,0,1] neg_hi:[0,0,1]
	ds_read2_b64 v[16:19], v0 offset0:32 offset1:192
	s_waitcnt vmcnt(2)
	v_pk_mul_f32 v[12:13], v[10:11], v[58:59] op_sel:[0,1]
	v_mov_b32_e32 v0, v61
	v_pk_fma_f32 v[108:109], v[10:11], v[58:59], v[12:13] op_sel:[0,0,1] op_sel_hi:[1,1,0]
	v_pk_fma_f32 v[12:13], v[10:11], v[58:59], v[12:13] op_sel:[0,0,1] op_sel_hi:[1,0,0] neg_lo:[0,0,1] neg_hi:[0,0,1]
	s_waitcnt lgkmcnt(0)
	v_pk_mul_f32 v[58:59], v[16:17], v[0:1] op_sel_hi:[1,0]
	v_mov_b32_e32 v107, v39
	v_pk_fma_f32 v[10:11], v[16:17], v[60:61], v[58:59] op_sel:[0,0,1] op_sel_hi:[1,1,0]
	v_pk_fma_f32 v[58:59], v[16:17], v[60:61], v[58:59] op_sel:[0,0,1] op_sel_hi:[1,0,0] neg_lo:[0,0,1] neg_hi:[0,0,1]
	s_waitcnt vmcnt(1)
	v_pk_mul_f32 v[16:17], v[18:19], v[70:71] op_sel:[0,1]
	v_mov_b32_e32 v38, v90
	v_pk_fma_f32 v[60:61], v[18:19], v[70:71], v[16:17] op_sel:[0,0,1] op_sel_hi:[1,1,0]
	v_mov_b32_e32 v69, v104
	v_mov_b32_e32 v39, v60
	v_pk_fma_f32 v[70:71], v[18:19], v[70:71], v[16:17] op_sel:[0,0,1] op_sel_hi:[1,0,0] neg_lo:[0,0,1] neg_hi:[0,0,1]
	v_pk_add_f32 v[16:17], v[38:39], v[68:69] neg_lo:[0,1] neg_hi:[0,1]
	v_mov_b32_e32 v77, v89
	v_mov_b32_e32 v0, v17
	;; [unrolled: 1-line block ×3, first 2 shown]
	v_pk_add_f32 v[72:73], v[16:17], v[0:1]
	v_mov_b32_e32 v97, v99
	v_pk_add_f32 v[16:17], v[76:77], v[90:91]
	v_mov_b32_e32 v105, v37
	v_pk_add_f32 v[16:17], v[16:17], v[96:97]
	v_mov_b32_e32 v70, v65
	v_mov_b32_e32 v36, v99
	v_pk_add_f32 v[110:111], v[96:97], v[104:105]
	v_pk_add_f32 v[96:97], v[96:97], v[104:105] neg_lo:[0,1] neg_hi:[0,1]
	v_pk_add_f32 v[104:105], v[16:17], v[104:105]
	v_pk_add_f32 v[16:17], v[70:71], v[36:37] neg_lo:[0,1] neg_hi:[0,1]
	v_mov_b32_e32 v101, v15
	v_mov_b32_e32 v0, v17
	v_pk_add_f32 v[64:65], v[16:17], v[0:1]
	ds_read2_b64 v[16:19], v78 offset1:160
	v_mov_b32_e32 v61, v71
	v_pk_add_f32 v[98:99], v[22:23], v[92:93] neg_lo:[0,1] neg_hi:[0,1]
	v_pk_add_f32 v[112:113], v[106:107], v[100:101] neg_lo:[0,1] neg_hi:[0,1]
	v_fma_f32 v3, -0.5, v110, v76
	v_fma_f32 v5, -0.5, v111, v89
	v_mov_b32_e32 v73, v97
	v_pk_add_f32 v[110:111], v[90:91], v[60:61] neg_lo:[0,1] neg_hi:[0,1]
	v_pk_add_f32 v[98:99], v[98:99], v[112:113]
	v_pk_add_f32 v[112:113], v[92:93], v[100:101]
	v_pk_add_f32 v[114:115], v[22:23], v[106:107] neg_lo:[0,1] neg_hi:[0,1]
	v_pk_mul_f32 v[72:73], v[72:73], s[8:9]
	v_fmamk_f32 v0, v111, 0xbf737871, v3
	v_mov_b32_e32 v65, v96
	s_waitcnt lgkmcnt(0)
	v_pk_fma_f32 v[112:113], v[112:113], 0.5, v[16:17] op_sel_hi:[1,0,1] neg_lo:[1,0,0] neg_hi:[1,0,0]
	v_pk_mul_f32 v[116:117], v[114:115], s[6:7] op_sel_hi:[1,0]
	v_sub_f32_e32 v7, v0, v73
	v_pk_mul_f32 v[64:65], v[64:65], s[8:9]
	v_fmamk_f32 v0, v110, 0x3f737871, v5
	v_pk_add_f32 v[118:119], v[112:113], v[116:117] op_sel:[0,1] op_sel_hi:[1,0] neg_lo:[0,1] neg_hi:[0,1]
	v_pk_add_f32 v[112:113], v[112:113], v[116:117] op_sel:[0,1] op_sel_hi:[1,0]
	v_pk_add_f32 v[116:117], v[92:93], v[100:101] neg_lo:[0,1] neg_hi:[0,1]
	v_add_f32_e32 v0, v65, v0
	v_pk_mul_f32 v[120:121], v[116:117], s[2:3] op_sel_hi:[1,0]
	v_add_f32_e32 v0, v64, v0
	v_pk_add_f32 v[112:113], v[112:113], v[120:121] op_sel:[0,1] op_sel_hi:[1,0]
	v_pk_add_f32 v[118:119], v[118:119], v[120:121] op_sel:[0,1] op_sel_hi:[1,0] neg_lo:[0,1] neg_hi:[0,1]
	v_pk_mul_f32 v[120:121], v[0:1], s[2:3] op_sel_hi:[0,1]
	v_add_f32_e32 v0, v72, v7
	v_pk_fma_f32 v[122:123], v[0:1], s[10:11], v[120:121] neg_lo:[0,0,1] neg_hi:[0,0,1]
	v_pk_fma_f32 v[120:121], v[0:1], s[10:11], v[120:121] op_sel_hi:[0,1,1]
	v_mov_b32_e32 v0, 3
	v_lshlrev_b32_sdwa v0, v0, v29 dst_sel:DWORD dst_unused:UNUSED_PAD src0_sel:DWORD src1_sel:BYTE_0
	v_mul_u32_u24_e32 v7, 0x320, v28
	v_pk_add_f32 v[38:39], v[68:69], v[38:39] neg_lo:[0,1] neg_hi:[0,1]
	v_add3_u32 v7, 0, v7, v0
	v_mov_b32_e32 v0, v39
	v_pk_add_f32 v[36:37], v[36:37], v[70:71] neg_lo:[0,1] neg_hi:[0,1]
	v_pk_add_f32 v[38:39], v[38:39], v[0:1]
	v_mov_b32_e32 v0, v37
	v_pk_add_f32 v[104:105], v[104:105], v[60:61]
	v_pk_add_f32 v[60:61], v[90:91], v[60:61]
	v_mov_b32_e32 v9, v76
	v_pk_add_f32 v[36:37], v[36:37], v[0:1]
	v_fmac_f32_e32 v9, -0.5, v60
	v_fmac_f32_e32 v89, -0.5, v61
	v_mov_b32_e32 v39, v111
	v_mov_b32_e32 v37, v110
	v_fmamk_f32 v0, v97, 0x3f737871, v9
	v_fmamk_f32 v11, v96, 0xbf737871, v89
	v_pk_mul_f32 v[38:39], v[38:39], s[8:9]
	v_pk_mul_f32 v[36:37], v[36:37], s[8:9]
	v_sub_f32_e32 v12, v0, v39
	v_add_f32_e32 v0, v37, v11
	v_pk_add_f32 v[60:61], v[92:93], v[22:23] neg_lo:[0,1] neg_hi:[0,1]
	v_pk_add_f32 v[68:69], v[100:101], v[106:107] neg_lo:[0,1] neg_hi:[0,1]
	v_add_f32_e32 v0, v36, v0
	v_pk_add_f32 v[28:29], v[16:17], v[22:23]
	v_pk_add_f32 v[22:23], v[22:23], v[106:107]
	;; [unrolled: 1-line block ×3, first 2 shown]
	v_pk_mul_f32 v[68:69], v[0:1], s[6:7] op_sel_hi:[0,1]
	v_add_f32_e32 v0, v38, v12
	v_fmac_f32_e32 v9, 0xbf737871, v97
	v_fmac_f32_e32 v89, 0x3f737871, v96
	v_pk_fma_f32 v[70:71], v[0:1], s[16:17], v[68:69] neg_lo:[0,0,1] neg_hi:[0,0,1]
	v_pk_fma_f32 v[68:69], v[0:1], s[16:17], v[68:69] op_sel_hi:[0,1,1]
	v_pk_fma_f32 v[16:17], v[22:23], 0.5, v[16:17] op_sel_hi:[1,0,1] neg_lo:[1,0,0] neg_hi:[1,0,0]
	v_pk_mul_f32 v[22:23], v[116:117], s[6:7] op_sel_hi:[1,0]
	v_mov_b32_e32 v71, v69
	v_pk_add_f32 v[68:69], v[16:17], v[22:23] op_sel:[0,1] op_sel_hi:[1,0]
	v_pk_add_f32 v[16:17], v[16:17], v[22:23] op_sel:[0,1] op_sel_hi:[1,0] neg_lo:[0,1] neg_hi:[0,1]
	v_pk_mul_f32 v[22:23], v[114:115], s[2:3] op_sel_hi:[1,0]
	v_add_f32_e32 v0, v39, v9
	v_sub_f32_e32 v9, v89, v37
	v_pk_add_f32 v[16:17], v[16:17], v[22:23] op_sel:[0,1] op_sel_hi:[1,0]
	v_pk_add_f32 v[22:23], v[68:69], v[22:23] op_sel:[0,1] op_sel_hi:[1,0] neg_lo:[0,1] neg_hi:[0,1]
	v_add_f32_e32 v12, v36, v9
	v_add_f32_e32 v0, v38, v0
	v_pk_mul_f32 v[36:37], v[12:13], s[6:7] op_sel_hi:[0,1]
	v_mov_b32_e32 v38, v22
	v_mov_b32_e32 v39, v17
	;; [unrolled: 1-line block ×3, first 2 shown]
	v_fmac_f32_e32 v3, 0x3f737871, v111
	v_fmac_f32_e32 v5, 0xbf737871, v110
	v_pk_fma_f32 v[36:37], v[0:1], s[14:15], v[36:37] op_sel_hi:[0,1,1] neg_lo:[0,0,1] neg_hi:[0,0,1]
	v_pk_fma_f32 v[22:23], v[60:61], s[8:9], v[38:39] op_sel_hi:[1,0,1]
	v_pk_fma_f32 v[16:17], v[60:61], s[8:9], v[16:17] op_sel_hi:[1,0,1]
	v_add_f32_e32 v0, v73, v3
	v_sub_f32_e32 v3, v5, v65
	v_pk_add_f32 v[28:29], v[28:29], v[92:93]
	v_pk_add_f32 v[38:39], v[22:23], v[70:71]
	;; [unrolled: 1-line block ×3, first 2 shown]
	v_add_f32_e32 v12, v64, v3
	v_mov_b32_e32 v123, v121
	v_pk_add_f32 v[28:29], v[28:29], v[100:101]
	s_barrier
	v_mov_b32_e32 v121, v113
	ds_write2_b64 v7, v[38:39], v[60:61] offset0:20 offset1:30
	v_add_f32_e32 v0, v72, v0
	v_pk_mul_f32 v[38:39], v[12:13], s[2:3] op_sel_hi:[0,1]
	v_mov_b32_e32 v113, v119
	v_pk_add_f32 v[28:29], v[28:29], v[106:107]
	v_mov_b32_e32 v120, v118
	v_pk_fma_f32 v[38:39], v[0:1], s[12:13], v[38:39] op_sel_hi:[0,1,1] neg_lo:[0,0,1] neg_hi:[0,0,1]
	v_pk_fma_f32 v[60:61], v[98:99], s[8:9], v[112:113] op_sel_hi:[1,0,1]
	v_pk_fma_f32 v[120:121], v[98:99], s[8:9], v[120:121] op_sel_hi:[1,0,1]
	v_pk_add_f32 v[124:125], v[28:29], v[104:105]
	v_pk_add_f32 v[28:29], v[28:29], v[104:105] neg_lo:[0,1] neg_hi:[0,1]
	v_pk_add_f32 v[64:65], v[60:61], v[38:39]
	ds_write2_b64 v7, v[64:65], v[28:29] offset0:40 offset1:50
	v_pk_add_f32 v[28:29], v[120:121], v[122:123] neg_lo:[0,1] neg_hi:[0,1]
	v_pk_add_f32 v[22:23], v[22:23], v[70:71] neg_lo:[0,1] neg_hi:[0,1]
	ds_write2_b64 v7, v[28:29], v[22:23] offset0:60 offset1:70
	v_pk_add_f32 v[16:17], v[16:17], v[36:37] neg_lo:[0,1] neg_hi:[0,1]
	v_pk_add_f32 v[22:23], v[60:61], v[38:39] neg_lo:[0,1] neg_hi:[0,1]
	ds_write2_b64 v7, v[16:17], v[22:23] offset0:80 offset1:90
	s_waitcnt vmcnt(0)
	v_pk_mul_f32 v[16:17], v[74:75], v[30:31] op_sel:[0,1]
	v_mov_b32_e32 v28, v6
	v_pk_fma_f32 v[22:23], v[74:75], v[30:31], v[16:17] op_sel:[0,0,1] op_sel_hi:[1,1,0]
	v_pk_fma_f32 v[16:17], v[74:75], v[30:31], v[16:17] op_sel:[0,0,1] op_sel_hi:[1,0,0] neg_lo:[0,0,1] neg_hi:[0,0,1]
	v_mov_b32_e32 v29, v22
	v_mov_b32_e32 v30, v102
	v_mov_b32_e32 v31, v108
	v_mov_b32_e32 v9, v35
	v_pk_add_f32 v[34:35], v[28:29], v[30:31] neg_lo:[0,1] neg_hi:[0,1]
	v_mov_b32_e32 v16, v67
	v_mov_b32_e32 v12, v33
	v_pk_add_f32 v[126:127], v[120:121], v[122:123]
	v_mov_b32_e32 v0, v35
	v_mov_b32_e32 v103, v33
	;; [unrolled: 1-line block ×3, first 2 shown]
	v_pk_add_f32 v[32:33], v[16:17], v[12:13] neg_lo:[0,1] neg_hi:[0,1]
	ds_write2_b64 v7, v[124:125], v[126:127] offset1:10
	v_mov_b32_e32 v5, v63
	v_mov_b32_e32 v3, v95
	;; [unrolled: 1-line block ×3, first 2 shown]
	v_pk_add_f32 v[34:35], v[34:35], v[0:1]
	v_mov_b32_e32 v21, v1
	v_mov_b32_e32 v7, v67
	v_pk_add_f32 v[38:39], v[102:103], v[108:109]
	v_pk_add_f32 v[58:59], v[102:103], v[108:109] neg_lo:[0,1] neg_hi:[0,1]
	v_mov_b32_e32 v0, v33
	v_mov_b32_e32 v23, v17
	v_pk_add_f32 v[36:37], v[20:21], v[6:7]
	v_pk_add_f32 v[32:33], v[32:33], v[0:1]
	v_pk_add_f32 v[60:61], v[4:5], v[2:3] neg_lo:[0,1] neg_hi:[0,1]
	v_pk_add_f32 v[62:63], v[10:11], v[8:9] neg_lo:[0,1] neg_hi:[0,1]
	v_fma_f32 v15, -0.5, v38, v20
	v_fma_f32 v21, -0.5, v39, v1
	v_mov_b32_e32 v35, v59
	v_pk_add_f32 v[38:39], v[6:7], v[22:23] neg_lo:[0,1] neg_hi:[0,1]
	v_pk_add_f32 v[60:61], v[60:61], v[62:63]
	v_pk_add_f32 v[62:63], v[2:3], v[8:9]
	v_pk_add_f32 v[64:65], v[4:5], v[10:11] neg_lo:[0,1] neg_hi:[0,1]
	v_pk_mul_f32 v[34:35], v[34:35], s[8:9]
	v_fmamk_f32 v0, v39, 0xbf737871, v15
	v_mov_b32_e32 v33, v58
	v_pk_fma_f32 v[62:63], v[62:63], 0.5, v[18:19] op_sel_hi:[1,0,1] neg_lo:[1,0,0] neg_hi:[1,0,0]
	v_pk_mul_f32 v[66:67], v[64:65], s[6:7] op_sel_hi:[1,0]
	v_sub_f32_e32 v72, v0, v35
	v_pk_mul_f32 v[32:33], v[32:33], s[8:9]
	v_fmamk_f32 v0, v38, 0x3f737871, v21
	v_pk_add_f32 v[68:69], v[62:63], v[66:67] op_sel:[0,1] op_sel_hi:[1,0] neg_lo:[0,1] neg_hi:[0,1]
	v_pk_add_f32 v[62:63], v[62:63], v[66:67] op_sel:[0,1] op_sel_hi:[1,0]
	v_pk_add_f32 v[66:67], v[2:3], v[8:9] neg_lo:[0,1] neg_hi:[0,1]
	v_add_f32_e32 v0, v33, v0
	v_pk_mul_f32 v[70:71], v[66:67], s[2:3] op_sel_hi:[1,0]
	v_add_f32_e32 v0, v32, v0
	v_pk_add_f32 v[36:37], v[36:37], v[102:103]
	v_pk_add_f32 v[62:63], v[62:63], v[70:71] op_sel:[0,1] op_sel_hi:[1,0]
	v_pk_add_f32 v[68:69], v[68:69], v[70:71] op_sel:[0,1] op_sel_hi:[1,0] neg_lo:[0,1] neg_hi:[0,1]
	v_pk_mul_f32 v[70:71], v[0:1], s[2:3] op_sel_hi:[0,1]
	v_add_f32_e32 v0, v34, v72
	v_pk_add_f32 v[36:37], v[36:37], v[108:109]
	v_pk_fma_f32 v[72:73], v[0:1], s[10:11], v[70:71] neg_lo:[0,0,1] neg_hi:[0,0,1]
	v_pk_fma_f32 v[70:71], v[0:1], s[10:11], v[70:71] op_sel_hi:[0,1,1]
	v_mul_u32_u24_e32 v0, 0x320, v26
	v_lshlrev_b32_e32 v26, 3, v27
	v_add3_u32 v87, 0, v0, v26
	v_pk_add_f32 v[26:27], v[18:19], v[4:5]
	v_pk_add_f32 v[36:37], v[36:37], v[22:23]
	;; [unrolled: 1-line block ×3, first 2 shown]
	v_pk_add_f32 v[22:23], v[30:31], v[28:29] neg_lo:[0,1] neg_hi:[0,1]
	v_pk_add_f32 v[26:27], v[26:27], v[2:3]
	v_mov_b32_e32 v0, v23
	v_mov_b32_e32 v73, v71
	v_pk_add_f32 v[26:27], v[26:27], v[8:9]
	v_mov_b32_e32 v70, v68
	v_mov_b32_e32 v71, v63
	v_pk_add_f32 v[22:23], v[22:23], v[0:1]
	v_fmac_f32_e32 v20, -0.5, v6
	v_fmac_f32_e32 v1, -0.5, v7
	v_pk_add_f32 v[6:7], v[12:13], v[16:17] neg_lo:[0,1] neg_hi:[0,1]
	v_pk_add_f32 v[26:27], v[26:27], v[10:11]
	v_pk_fma_f32 v[70:71], v[60:61], s[8:9], v[70:71] op_sel_hi:[1,0,1]
	v_mov_b32_e32 v0, v7
	v_pk_add_f32 v[74:75], v[26:27], v[36:37]
	v_pk_add_f32 v[76:77], v[70:71], v[72:73]
	v_pk_add_f32 v[6:7], v[6:7], v[0:1]
	ds_write2_b64 v87, v[74:75], v[76:77] offset1:10
	v_pk_add_f32 v[74:75], v[4:5], v[10:11]
	v_pk_add_f32 v[2:3], v[2:3], v[4:5] neg_lo:[0,1] neg_hi:[0,1]
	v_pk_add_f32 v[4:5], v[8:9], v[10:11] neg_lo:[0,1] neg_hi:[0,1]
	v_mov_b32_e32 v23, v39
	v_mov_b32_e32 v7, v38
	v_fmamk_f32 v0, v59, 0x3f737871, v20
	v_fmamk_f32 v12, v58, 0xbf737871, v1
	v_pk_add_f32 v[2:3], v[2:3], v[4:5]
	v_pk_mul_f32 v[4:5], v[22:23], s[8:9]
	v_pk_mul_f32 v[6:7], v[6:7], s[8:9]
	v_sub_f32_e32 v10, v0, v5
	v_add_f32_e32 v0, v7, v12
	v_fmac_f32_e32 v1, 0x3f737871, v58
	v_add_f32_e32 v0, v6, v0
	v_pk_mul_f32 v[8:9], v[0:1], s[6:7] op_sel_hi:[0,1]
	v_add_f32_e32 v0, v4, v10
	v_fmac_f32_e32 v20, 0xbf737871, v59
	v_pk_fma_f32 v[10:11], v[0:1], s[16:17], v[8:9] neg_lo:[0,0,1] neg_hi:[0,0,1]
	v_pk_fma_f32 v[8:9], v[0:1], s[16:17], v[8:9] op_sel_hi:[0,1,1]
	v_pk_fma_f32 v[18:19], v[74:75], 0.5, v[18:19] op_sel_hi:[1,0,1] neg_lo:[1,0,0] neg_hi:[1,0,0]
	v_mov_b32_e32 v11, v9
	v_pk_mul_f32 v[8:9], v[66:67], s[6:7] op_sel_hi:[1,0]
	v_add_f32_e32 v0, v5, v20
	v_sub_f32_e32 v1, v1, v7
	v_pk_add_f32 v[12:13], v[18:19], v[8:9] op_sel:[0,1] op_sel_hi:[1,0]
	v_pk_add_f32 v[8:9], v[18:19], v[8:9] op_sel:[0,1] op_sel_hi:[1,0] neg_lo:[0,1] neg_hi:[0,1]
	v_pk_mul_f32 v[16:17], v[64:65], s[2:3] op_sel_hi:[1,0]
	v_add_f32_e32 v0, v4, v0
	v_add_f32_e32 v4, v6, v1
	v_pk_add_f32 v[8:9], v[8:9], v[16:17] op_sel:[0,1] op_sel_hi:[1,0]
	v_pk_add_f32 v[12:13], v[12:13], v[16:17] op_sel:[0,1] op_sel_hi:[1,0] neg_lo:[0,1] neg_hi:[0,1]
	v_pk_mul_f32 v[4:5], v[4:5], s[6:7] op_sel_hi:[0,1]
	v_pk_fma_f32 v[0:1], v[0:1], s[14:15], v[4:5] op_sel_hi:[0,1,1] neg_lo:[0,0,1] neg_hi:[0,0,1]
	v_mov_b32_e32 v4, v12
	v_mov_b32_e32 v5, v9
	;; [unrolled: 1-line block ×3, first 2 shown]
	v_pk_fma_f32 v[4:5], v[2:3], s[8:9], v[4:5] op_sel_hi:[1,0,1]
	v_pk_fma_f32 v[2:3], v[2:3], s[8:9], v[8:9] op_sel_hi:[1,0,1]
	v_pk_add_f32 v[6:7], v[4:5], v[10:11]
	v_pk_add_f32 v[8:9], v[2:3], v[0:1]
	v_fmac_f32_e32 v21, 0xbf737871, v38
	ds_write2_b64 v87, v[6:7], v[8:9] offset0:20 offset1:30
	v_fmac_f32_e32 v15, 0x3f737871, v39
	v_sub_f32_e32 v7, v21, v33
	v_add_f32_e32 v6, v35, v15
	v_add_f32_e32 v8, v32, v7
	;; [unrolled: 1-line block ×3, first 2 shown]
	v_pk_mul_f32 v[8:9], v[8:9], s[2:3] op_sel_hi:[0,1]
	v_mov_b32_e32 v63, v69
	v_pk_fma_f32 v[6:7], v[6:7], s[12:13], v[8:9] op_sel_hi:[0,1,1] neg_lo:[0,0,1] neg_hi:[0,0,1]
	v_pk_fma_f32 v[8:9], v[60:61], s[8:9], v[62:63] op_sel_hi:[1,0,1]
	v_pk_add_f32 v[0:1], v[2:3], v[0:1] neg_lo:[0,1] neg_hi:[0,1]
	v_pk_add_f32 v[2:3], v[8:9], v[6:7] neg_lo:[0,1] neg_hi:[0,1]
	ds_write2_b64 v87, v[0:1], v[2:3] offset0:80 offset1:90
	v_add_u16_e32 v0, 0x280, v42
	v_lshrrev_b16_e32 v1, 2, v0
	v_mul_u32_u24_e32 v1, 0x147b, v1
	v_pk_add_f32 v[12:13], v[8:9], v[6:7]
	v_pk_add_f32 v[16:17], v[26:27], v[36:37] neg_lo:[0,1] neg_hi:[0,1]
	v_lshrrev_b32_e32 v15, 17, v1
	ds_write2_b64 v87, v[12:13], v[16:17] offset0:40 offset1:50
	v_pk_add_f32 v[12:13], v[70:71], v[72:73] neg_lo:[0,1] neg_hi:[0,1]
	v_pk_add_f32 v[4:5], v[4:5], v[10:11] neg_lo:[0,1] neg_hi:[0,1]
	v_mul_lo_u16_e32 v1, 0x64, v15
	ds_write2_b64 v87, v[12:13], v[4:5] offset0:60 offset1:70
	v_sub_u16_e32 v87, v0, v1
	v_mul_u32_u24_e32 v0, 3, v87
	v_lshlrev_b32_e32 v28, 3, v0
	v_lshrrev_b16_e32 v0, 2, v56
	v_mul_u32_u24_e32 v0, 0x147b, v0
	v_lshrrev_b32_e32 v102, 17, v0
	v_mul_lo_u16_e32 v0, 0x64, v102
	v_sub_u16_e32 v56, v56, v0
	v_mul_u32_u24_e32 v0, 3, v56
	v_lshlrev_b32_e32 v29, 3, v0
	v_lshrrev_b16_e32 v0, 2, v54
	v_mul_u32_u24_e32 v0, 0x147b, v0
	v_lshrrev_b32_e32 v103, 17, v0
	v_mul_lo_u16_e32 v0, 0x64, v103
	v_sub_u16_e32 v104, v54, v0
	v_mul_u32_u24_e32 v0, 3, v104
	v_lshlrev_b32_e32 v30, 3, v0
	v_lshrrev_b16_e32 v0, 2, v25
	s_waitcnt lgkmcnt(0)
	s_barrier
	global_load_dwordx2 v[12:13], v28, s[4:5] offset:736
	global_load_dwordx2 v[34:35], v29, s[4:5] offset:736
	global_load_dwordx2 v[36:37], v30, s[4:5] offset:736
	v_mul_u32_u24_e32 v0, 0x147b, v0
	v_lshrrev_b32_e32 v105, 17, v0
	v_mul_lo_u16_e32 v0, 0x64, v105
	v_sub_u16_e32 v25, v25, v0
	v_mul_u32_u24_e32 v0, 3, v25
	v_lshlrev_b32_e32 v31, 3, v0
	global_load_dwordx2 v[38:39], v31, s[4:5] offset:736
	s_movk_i32 s2, 0x64
	v_add_u32_e32 v0, 0xffffff9c, v42
	v_cmp_gt_u32_e32 vcc, s2, v42
	v_mov_b32_e32 v1, v43
	s_movk_i32 s2, 0x63
	v_cndmask_b32_e32 v106, v0, v42, vcc
	v_mul_i32_i24_e32 v0, 3, v106
	v_lshl_add_u64 v[26:27], v[0:1], 3, s[4:5]
	global_load_dwordx2 v[58:59], v[26:27], off offset:736
	global_load_dwordx4 v[0:3], v28, s[4:5] offset:720
	global_load_dwordx4 v[4:7], v29, s[4:5] offset:720
	;; [unrolled: 1-line block ×4, first 2 shown]
	global_load_dwordx4 v[20:23], v[26:27], off offset:720
	ds_read2_b64 v[26:29], v83 offset0:64 offset1:224
	ds_read2_b64 v[30:33], v81 offset1:160
	v_cmp_lt_u32_e32 vcc, s2, v42
	s_mov_b32 s2, 0x5040100
	s_waitcnt vmcnt(9) lgkmcnt(1)
	v_pk_mul_f32 v[60:61], v[28:29], v[12:13] op_sel:[0,1]
	s_nop 0
	v_pk_fma_f32 v[62:63], v[28:29], v[12:13], v[60:61] op_sel:[0,0,1] op_sel_hi:[1,1,0]
	v_pk_fma_f32 v[12:13], v[28:29], v[12:13], v[60:61] op_sel:[0,0,1] op_sel_hi:[1,0,0] neg_lo:[0,0,1] neg_hi:[0,0,1]
	s_waitcnt vmcnt(8)
	v_pk_mul_f32 v[28:29], v[26:27], v[34:35] op_sel:[0,1]
	s_waitcnt vmcnt(7) lgkmcnt(0)
	v_pk_mul_f32 v[64:65], v[32:33], v[36:37] op_sel:[0,1]
	v_pk_fma_f32 v[60:61], v[26:27], v[34:35], v[28:29] op_sel:[0,0,1] op_sel_hi:[1,1,0]
	v_pk_fma_f32 v[34:35], v[26:27], v[34:35], v[28:29] op_sel:[0,0,1] op_sel_hi:[1,0,0] neg_lo:[0,0,1] neg_hi:[0,0,1]
	ds_read2_b64 v[26:29], v84 offset0:64 offset1:224
	v_pk_fma_f32 v[66:67], v[32:33], v[36:37], v[64:65] op_sel:[0,0,1] op_sel_hi:[1,1,0]
	v_pk_fma_f32 v[32:33], v[32:33], v[36:37], v[64:65] op_sel:[0,0,1] op_sel_hi:[1,0,0] neg_lo:[0,0,1] neg_hi:[0,0,1]
	s_waitcnt vmcnt(6)
	v_pk_mul_f32 v[36:37], v[30:31], v[38:39] op_sel:[0,1]
	v_mov_b32_e32 v67, v33
	v_pk_fma_f32 v[64:65], v[30:31], v[38:39], v[36:37] op_sel:[0,0,1] op_sel_hi:[1,1,0]
	v_pk_fma_f32 v[36:37], v[30:31], v[38:39], v[36:37] op_sel:[0,0,1] op_sel_hi:[1,0,0] neg_lo:[0,0,1] neg_hi:[0,0,1]
	s_waitcnt vmcnt(5) lgkmcnt(0)
	v_pk_mul_f32 v[30:31], v[58:59], v[28:29] op_sel:[0,1]
	s_waitcnt vmcnt(4)
	v_mov_b32_e32 v12, v3
	v_pk_fma_f32 v[38:39], v[58:59], v[28:29], v[30:31] op_sel:[0,0,1] op_sel_hi:[1,1,0]
	v_pk_fma_f32 v[58:59], v[58:59], v[28:29], v[30:31] op_sel:[0,0,1] op_sel_hi:[1,0,0] neg_lo:[1,0,0] neg_hi:[1,0,0]
	ds_read2_b64 v[28:31], v80 offset1:160
	v_pk_mul_f32 v[68:69], v[26:27], v[12:13] op_sel_hi:[1,0]
	v_mov_b32_e32 v39, v59
	v_pk_fma_f32 v[70:71], v[26:27], v[2:3], v[68:69] op_sel:[0,0,1] op_sel_hi:[1,1,0]
	v_pk_fma_f32 v[26:27], v[26:27], v[2:3], v[68:69] op_sel:[0,0,1] op_sel_hi:[1,0,0] neg_lo:[0,0,1] neg_hi:[0,0,1]
	s_waitcnt lgkmcnt(0)
	v_pk_mul_f32 v[2:3], v[30:31], v[0:1] op_sel:[0,1]
	s_waitcnt vmcnt(3)
	v_pk_mul_f32 v[72:73], v[28:29], v[4:5] op_sel:[0,1]
	v_pk_fma_f32 v[68:69], v[30:31], v[0:1], v[2:3] op_sel:[0,0,1] op_sel_hi:[1,1,0]
	v_pk_fma_f32 v[30:31], v[30:31], v[0:1], v[2:3] op_sel:[0,0,1] op_sel_hi:[1,0,0] neg_lo:[0,0,1] neg_hi:[0,0,1]
	ds_read2_b64 v[0:3], v86 offset1:160
	v_pk_fma_f32 v[74:75], v[28:29], v[4:5], v[72:73] op_sel:[0,0,1] op_sel_hi:[1,1,0]
	v_pk_fma_f32 v[28:29], v[28:29], v[4:5], v[72:73] op_sel:[0,0,1] op_sel_hi:[1,0,0] neg_lo:[0,0,1] neg_hi:[0,0,1]
	v_mov_b32_e32 v4, v7
	v_mov_b32_e32 v65, v37
	s_waitcnt lgkmcnt(0)
	v_pk_mul_f32 v[4:5], v[2:3], v[4:5] op_sel_hi:[1,0]
	v_mov_b32_e32 v63, v13
	v_pk_fma_f32 v[72:73], v[2:3], v[6:7], v[4:5] op_sel:[0,0,1] op_sel_hi:[1,1,0]
	v_pk_fma_f32 v[76:77], v[2:3], v[6:7], v[4:5] op_sel:[0,0,1] op_sel_hi:[1,0,0] neg_lo:[0,0,1] neg_hi:[0,0,1]
	ds_read2_b64 v[2:5], v82 offset0:64 offset1:224
	s_waitcnt vmcnt(2)
	v_mov_b32_e32 v6, v11
	v_pk_mul_f32 v[6:7], v[0:1], v[6:7] op_sel_hi:[1,0]
	v_mov_b32_e32 v73, v77
	v_pk_fma_f32 v[88:89], v[0:1], v[10:11], v[6:7] op_sel:[0,0,1] op_sel_hi:[1,1,0]
	v_pk_fma_f32 v[10:11], v[0:1], v[10:11], v[6:7] op_sel:[0,0,1] op_sel_hi:[1,0,0] neg_lo:[0,0,1] neg_hi:[0,0,1]
	s_waitcnt lgkmcnt(0)
	v_pk_mul_f32 v[0:1], v[4:5], v[8:9] op_sel:[0,1]
	v_lshlrev_b32_e32 v10, 3, v106
	v_pk_fma_f32 v[90:91], v[4:5], v[8:9], v[0:1] op_sel:[0,0,1] op_sel_hi:[1,1,0]
	v_pk_fma_f32 v[8:9], v[4:5], v[8:9], v[0:1] op_sel:[0,0,1] op_sel_hi:[1,0,0] neg_lo:[0,0,1] neg_hi:[0,0,1]
	ds_read2_b64 v[4:7], v85 offset0:64 offset1:224
	s_waitcnt vmcnt(1)
	v_pk_mul_f32 v[0:1], v[16:17], v[2:3] op_sel:[0,1]
	v_mov_b32_e32 v8, 0xc80
	v_pk_fma_f32 v[92:93], v[16:17], v[2:3], v[0:1] op_sel:[0,0,1] op_sel_hi:[1,1,0]
	v_pk_fma_f32 v[16:17], v[16:17], v[2:3], v[0:1] op_sel:[0,0,1] op_sel_hi:[1,0,0] neg_lo:[1,0,0] neg_hi:[1,0,0]
	v_mov_b32_e32 v0, v19
	s_waitcnt lgkmcnt(0)
	v_pk_mul_f32 v[94:95], v[6:7], v[0:1] op_sel_hi:[1,0]
	ds_read2_b64 v[0:3], v79 offset1:160
	v_pk_fma_f32 v[96:97], v[6:7], v[18:19], v[94:95] op_sel:[0,0,1] op_sel_hi:[1,1,0]
	v_pk_fma_f32 v[18:19], v[6:7], v[18:19], v[94:95] op_sel:[0,0,1] op_sel_hi:[1,0,0] neg_lo:[0,0,1] neg_hi:[0,0,1]
	s_waitcnt vmcnt(0)
	v_pk_mul_f32 v[6:7], v[22:23], v[4:5] op_sel:[0,1]
	v_cndmask_b32_e32 v8, 0, v8, vcc
	v_pk_fma_f32 v[94:95], v[22:23], v[4:5], v[6:7] op_sel:[0,0,1] op_sel_hi:[1,1,0]
	v_pk_fma_f32 v[22:23], v[22:23], v[4:5], v[6:7] op_sel:[0,0,1] op_sel_hi:[1,0,0] neg_lo:[1,0,0] neg_hi:[1,0,0]
	ds_read2_b64 v[4:7], v78 offset1:160
	s_waitcnt lgkmcnt(1)
	v_pk_mul_f32 v[98:99], v[20:21], v[2:3] op_sel:[0,1]
	v_mov_b32_e32 v95, v23
	v_pk_fma_f32 v[100:101], v[20:21], v[2:3], v[98:99] op_sel:[0,0,1] op_sel_hi:[1,1,0]
	v_pk_fma_f32 v[2:3], v[20:21], v[2:3], v[98:99] op_sel:[0,0,1] op_sel_hi:[1,0,0] neg_lo:[1,0,0] neg_hi:[1,0,0]
	v_add3_u32 v8, 0, v8, v10
	v_mov_b32_e32 v101, v3
	s_waitcnt lgkmcnt(0)
	v_pk_add_f32 v[2:3], v[4:5], v[94:95] neg_lo:[0,1] neg_hi:[0,1]
	v_pk_add_f32 v[20:21], v[100:101], v[38:39] neg_lo:[0,1] neg_hi:[0,1]
	v_pk_fma_f32 v[4:5], v[4:5], 2.0, v[2:3] op_sel_hi:[1,0,1] neg_lo:[0,0,1] neg_hi:[0,0,1]
	v_pk_fma_f32 v[22:23], v[100:101], 2.0, v[20:21] op_sel_hi:[1,0,1] neg_lo:[0,0,1] neg_hi:[0,0,1]
	v_pk_add_f32 v[38:39], v[2:3], v[20:21] op_sel:[0,1] op_sel_hi:[1,0]
	v_pk_add_f32 v[20:21], v[2:3], v[20:21] op_sel:[0,1] op_sel_hi:[1,0] neg_lo:[0,1] neg_hi:[0,1]
	v_mov_b32_e32 v97, v19
	v_mov_b32_e32 v39, v21
	v_pk_add_f32 v[20:21], v[4:5], v[22:23] neg_lo:[0,1] neg_hi:[0,1]
	v_pk_fma_f32 v[2:3], v[2:3], 2.0, v[38:39] op_sel_hi:[1,0,1] neg_lo:[0,0,1] neg_hi:[0,0,1]
	v_pk_fma_f32 v[4:5], v[4:5], 2.0, v[20:21] op_sel_hi:[1,0,1] neg_lo:[0,0,1] neg_hi:[0,0,1]
	ds_read_b64 v[22:23], v57
	ds_read_b64 v[58:59], v55
	s_waitcnt lgkmcnt(0)
	s_barrier
	ds_write2_b64 v8, v[4:5], v[2:3] offset1:100
	v_add_u32_e32 v2, 0x400, v8
	ds_write2_b64 v2, v[20:21], v[38:39] offset0:72 offset1:172
	v_mov_b32_e32 v93, v17
	v_pk_add_f32 v[2:3], v[6:7], v[96:97] neg_lo:[0,1] neg_hi:[0,1]
	v_mov_b32_e32 v91, v9
	v_pk_fma_f32 v[4:5], v[6:7], 2.0, v[2:3] op_sel_hi:[1,0,1] neg_lo:[0,0,1] neg_hi:[0,0,1]
	v_pk_add_f32 v[6:7], v[92:93], v[64:65] neg_lo:[0,1] neg_hi:[0,1]
	v_mov_b32_e32 v89, v11
	v_pk_fma_f32 v[16:17], v[92:93], 2.0, v[6:7] op_sel_hi:[1,0,1] neg_lo:[0,0,1] neg_hi:[0,0,1]
	v_pk_add_f32 v[18:19], v[2:3], v[6:7] op_sel:[0,1] op_sel_hi:[1,0]
	v_pk_add_f32 v[6:7], v[2:3], v[6:7] op_sel:[0,1] op_sel_hi:[1,0] neg_lo:[0,1] neg_hi:[0,1]
	v_pk_add_f32 v[10:11], v[22:23], v[72:73] neg_lo:[0,1] neg_hi:[0,1]
	v_mov_b32_e32 v19, v7
	v_mul_u32_u24_e32 v6, 0xc80, v105
	v_lshlrev_b32_e32 v7, 3, v25
	v_add3_u32 v25, 0, v6, v7
	v_pk_add_f32 v[6:7], v[4:5], v[16:17] neg_lo:[0,1] neg_hi:[0,1]
	v_pk_fma_f32 v[2:3], v[2:3], 2.0, v[18:19] op_sel_hi:[1,0,1] neg_lo:[0,0,1] neg_hi:[0,0,1]
	v_pk_fma_f32 v[4:5], v[4:5], 2.0, v[6:7] op_sel_hi:[1,0,1] neg_lo:[0,0,1] neg_hi:[0,0,1]
	ds_write2_b64 v25, v[4:5], v[2:3] offset1:100
	v_mov_b32_e32 v75, v29
	v_perm_b32 v4, v102, v103, s2
	s_movk_i32 s2, 0xc80
	v_pk_fma_f32 v[12:13], v[22:23], 2.0, v[10:11] op_sel_hi:[1,0,1] neg_lo:[0,0,1] neg_hi:[0,0,1]
	v_pk_add_f32 v[22:23], v[58:59], v[88:89] neg_lo:[0,1] neg_hi:[0,1]
	v_pk_add_f32 v[28:29], v[90:91], v[66:67] neg_lo:[0,1] neg_hi:[0,1]
	v_add_u32_e32 v25, 0x400, v25
	v_mov_b32_e32 v69, v31
	v_mov_b32_e32 v71, v27
	v_pk_mul_lo_u16 v4, v4, s2 op_sel_hi:[1,0]
	v_pk_fma_f32 v[26:27], v[58:59], 2.0, v[22:23] op_sel_hi:[1,0,1] neg_lo:[0,0,1] neg_hi:[0,0,1]
	v_pk_fma_f32 v[30:31], v[90:91], 2.0, v[28:29] op_sel_hi:[1,0,1] neg_lo:[0,0,1] neg_hi:[0,0,1]
	ds_write2_b64 v25, v[6:7], v[18:19] offset0:72 offset1:172
	v_pk_add_f32 v[6:7], v[22:23], v[28:29] op_sel:[0,1] op_sel_hi:[1,0]
	v_pk_add_f32 v[18:19], v[22:23], v[28:29] op_sel:[0,1] op_sel_hi:[1,0] neg_lo:[0,1] neg_hi:[0,1]
	v_lshlrev_b32_e32 v5, 3, v104
	v_and_b32_e32 v8, 0xff80, v4
	v_pk_add_f32 v[30:31], v[26:27], v[30:31] neg_lo:[0,1] neg_hi:[0,1]
	v_mov_b32_e32 v7, v19
	v_mov_b32_e32 v61, v35
	v_add3_u32 v32, 0, v8, v5
	v_pk_fma_f32 v[26:27], v[26:27], 2.0, v[30:31] op_sel_hi:[1,0,1] neg_lo:[0,0,1] neg_hi:[0,0,1]
	v_pk_fma_f32 v[18:19], v[22:23], 2.0, v[6:7] op_sel_hi:[1,0,1] neg_lo:[0,0,1] neg_hi:[0,0,1]
	v_pk_add_f32 v[16:17], v[74:75], v[60:61] neg_lo:[0,1] neg_hi:[0,1]
	ds_write2_b64 v32, v[26:27], v[18:19] offset1:100
	v_add_u32_e32 v18, 0x400, v32
	v_pk_fma_f32 v[20:21], v[74:75], 2.0, v[16:17] op_sel_hi:[1,0,1] neg_lo:[0,0,1] neg_hi:[0,0,1]
	ds_write2_b64 v18, v[30:31], v[6:7] offset0:72 offset1:172
	v_pk_add_f32 v[6:7], v[10:11], v[16:17] op_sel:[0,1] op_sel_hi:[1,0]
	v_pk_add_f32 v[16:17], v[10:11], v[16:17] op_sel:[0,1] op_sel_hi:[1,0] neg_lo:[0,1] neg_hi:[0,1]
	v_lshrrev_b32_e32 v4, 16, v4
	v_lshlrev_b32_e32 v5, 3, v56
	v_pk_add_f32 v[20:21], v[12:13], v[20:21] neg_lo:[0,1] neg_hi:[0,1]
	v_mov_b32_e32 v7, v17
	v_add3_u32 v33, 0, v4, v5
	v_mul_u32_u24_e32 v4, 0xc80, v15
	v_lshlrev_b32_e32 v5, 3, v87
	v_pk_fma_f32 v[12:13], v[12:13], 2.0, v[20:21] op_sel_hi:[1,0,1] neg_lo:[0,0,1] neg_hi:[0,0,1]
	v_pk_fma_f32 v[10:11], v[10:11], 2.0, v[6:7] op_sel_hi:[1,0,1] neg_lo:[0,0,1] neg_hi:[0,0,1]
	v_pk_add_f32 v[2:3], v[0:1], v[70:71] neg_lo:[0,1] neg_hi:[0,1]
	v_add3_u32 v15, 0, v4, v5
	v_pk_add_f32 v[4:5], v[68:69], v[62:63] neg_lo:[0,1] neg_hi:[0,1]
	ds_write2_b64 v33, v[12:13], v[10:11] offset1:100
	v_add_u32_e32 v10, 0x400, v33
	v_pk_fma_f32 v[0:1], v[0:1], 2.0, v[2:3] op_sel_hi:[1,0,1] neg_lo:[0,0,1] neg_hi:[0,0,1]
	v_pk_fma_f32 v[8:9], v[68:69], 2.0, v[4:5] op_sel_hi:[1,0,1] neg_lo:[0,0,1] neg_hi:[0,0,1]
	ds_write2_b64 v10, v[20:21], v[6:7] offset0:72 offset1:172
	v_pk_add_f32 v[6:7], v[2:3], v[4:5] op_sel:[0,1] op_sel_hi:[1,0]
	v_pk_add_f32 v[4:5], v[2:3], v[4:5] op_sel:[0,1] op_sel_hi:[1,0] neg_lo:[0,1] neg_hi:[0,1]
	v_pk_add_f32 v[8:9], v[0:1], v[8:9] neg_lo:[0,1] neg_hi:[0,1]
	v_mov_b32_e32 v7, v5
	v_pk_fma_f32 v[0:1], v[0:1], 2.0, v[8:9] op_sel_hi:[1,0,1] neg_lo:[0,0,1] neg_hi:[0,0,1]
	v_pk_fma_f32 v[2:3], v[2:3], 2.0, v[6:7] op_sel_hi:[1,0,1] neg_lo:[0,0,1] neg_hi:[0,0,1]
	ds_write2_b64 v15, v[0:1], v[2:3] offset1:100
	v_add_u32_e32 v0, 0x400, v15
	ds_write2_b64 v0, v[8:9], v[6:7] offset0:72 offset1:172
	v_mul_u32_u24_e32 v0, 3, v42
	v_lshlrev_b32_e32 v0, 3, v0
	v_mov_b32_e32 v1, v43
	v_add_u32_e32 v15, 0x780, v0
	v_lshl_add_u64 v[26:27], s[4:5], 0, v[0:1]
	s_mov_b64 s[2:3], 0x1b30
	s_waitcnt lgkmcnt(0)
	s_barrier
	global_load_dwordx2 v[2:3], v15, s[4:5] offset:3136
	v_add_u32_e32 v1, 0x1680, v0
	v_lshl_add_u64 v[4:5], v[26:27], 0, s[2:3]
	global_load_dwordx2 v[4:5], v[4:5], off offset:16
	s_movk_i32 s2, 0x50
	global_load_dwordx2 v[6:7], v1, s[4:5] offset:3136
	v_add_u32_e32 v8, 0xffffffb0, v42
	v_cmp_gt_u32_e32 vcc, s2, v42
	v_mov_b32_e32 v9, v43
	s_movk_i32 s2, 0x4f
	v_cndmask_b32_e32 v25, v8, v54, vcc
	v_mul_i32_i24_e32 v8, 3, v25
	v_lshl_add_u64 v[28:29], v[8:9], 3, s[4:5]
	global_load_dwordx2 v[8:9], v[28:29], off offset:3136
	global_load_dwordx2 v[38:39], v0, s[4:5] offset:3136
	global_load_dwordx4 v[10:13], v1, s[4:5] offset:3120
	global_load_dwordx4 v[16:19], v15, s[4:5] offset:3120
	global_load_dwordx4 v[20:23], v[28:29], off offset:3120
	v_add_co_u32_e32 v34, vcc, s18, v26
	s_movk_i32 s3, 0x4000
	s_nop 0
	v_addc_co_u32_e32 v35, vcc, 0, v27, vcc
	global_load_dwordx4 v[26:29], v[34:35], off offset:2864
	global_load_dwordx4 v[30:33], v0, s[4:5] offset:3120
	ds_read2_b64 v[34:37], v83 offset0:64 offset1:224
	ds_read2_b64 v[58:61], v81 offset1:160
	v_cmp_lt_u32_e32 vcc, s2, v42
	s_movk_i32 s2, 0x3000
	s_waitcnt vmcnt(9) lgkmcnt(1)
	v_pk_mul_f32 v[0:1], v[34:35], v[2:3] op_sel:[0,1]
	s_nop 0
	v_pk_fma_f32 v[62:63], v[34:35], v[2:3], v[0:1] op_sel:[0,0,1] op_sel_hi:[1,1,0]
	v_pk_fma_f32 v[34:35], v[34:35], v[2:3], v[0:1] op_sel:[0,0,1] op_sel_hi:[1,0,0] neg_lo:[0,0,1] neg_hi:[0,0,1]
	s_waitcnt vmcnt(7)
	v_pk_mul_f32 v[0:1], v[36:37], v[6:7] op_sel:[0,1]
	s_nop 0
	v_pk_fma_f32 v[64:65], v[36:37], v[6:7], v[0:1] op_sel:[0,0,1] op_sel_hi:[1,1,0]
	v_pk_fma_f32 v[36:37], v[36:37], v[6:7], v[0:1] op_sel:[0,0,1] op_sel_hi:[1,0,0] neg_lo:[0,0,1] neg_hi:[0,0,1]
	ds_read2_b64 v[0:3], v84 offset0:64 offset1:224
	s_waitcnt lgkmcnt(1)
	v_pk_mul_f32 v[6:7], v[58:59], v[4:5] op_sel:[0,1]
	v_mov_b32_e32 v63, v35
	v_pk_fma_f32 v[66:67], v[58:59], v[4:5], v[6:7] op_sel:[0,0,1] op_sel_hi:[1,1,0]
	v_pk_fma_f32 v[58:59], v[58:59], v[4:5], v[6:7] op_sel:[0,0,1] op_sel_hi:[1,0,0] neg_lo:[0,0,1] neg_hi:[0,0,1]
	s_waitcnt vmcnt(6)
	v_pk_mul_f32 v[4:5], v[60:61], v[8:9] op_sel:[0,1]
	s_waitcnt vmcnt(4)
	v_mov_b32_e32 v6, v13
	v_pk_fma_f32 v[68:69], v[60:61], v[8:9], v[4:5] op_sel:[0,0,1] op_sel_hi:[1,1,0]
	v_pk_fma_f32 v[60:61], v[60:61], v[8:9], v[4:5] op_sel:[0,0,1] op_sel_hi:[1,0,0] neg_lo:[0,0,1] neg_hi:[0,0,1]
	s_waitcnt lgkmcnt(0)
	v_pk_mul_f32 v[4:5], v[38:39], v[2:3] op_sel:[0,1]
	v_pk_mul_f32 v[6:7], v[0:1], v[6:7] op_sel_hi:[1,0]
	v_pk_fma_f32 v[70:71], v[38:39], v[2:3], v[4:5] op_sel:[0,0,1] op_sel_hi:[1,1,0]
	v_pk_fma_f32 v[38:39], v[38:39], v[2:3], v[4:5] op_sel:[0,0,1] op_sel_hi:[1,0,0] neg_lo:[1,0,0] neg_hi:[1,0,0]
	ds_read2_b64 v[2:5], v80 offset1:160
	v_pk_fma_f32 v[72:73], v[0:1], v[12:13], v[6:7] op_sel:[0,0,1] op_sel_hi:[1,1,0]
	v_pk_fma_f32 v[12:13], v[0:1], v[12:13], v[6:7] op_sel:[0,0,1] op_sel_hi:[1,0,0] neg_lo:[0,0,1] neg_hi:[0,0,1]
	v_mov_b32_e32 v71, v39
	v_mov_b32_e32 v67, v59
	s_waitcnt lgkmcnt(0)
	v_pk_mul_f32 v[0:1], v[4:5], v[10:11] op_sel:[0,1]
	v_mov_b32_e32 v73, v13
	v_pk_fma_f32 v[74:75], v[4:5], v[10:11], v[0:1] op_sel:[0,0,1] op_sel_hi:[1,1,0]
	v_pk_fma_f32 v[10:11], v[4:5], v[10:11], v[0:1] op_sel:[0,0,1] op_sel_hi:[1,0,0] neg_lo:[0,0,1] neg_hi:[0,0,1]
	ds_read2_b64 v[4:7], v86 offset1:160
	s_waitcnt vmcnt(3)
	v_pk_mul_f32 v[0:1], v[2:3], v[16:17] op_sel:[0,1]
	v_mov_b32_e32 v69, v61
	v_pk_fma_f32 v[76:77], v[2:3], v[16:17], v[0:1] op_sel:[0,0,1] op_sel_hi:[1,1,0]
	v_pk_fma_f32 v[16:17], v[2:3], v[16:17], v[0:1] op_sel:[0,0,1] op_sel_hi:[1,0,0] neg_lo:[0,0,1] neg_hi:[0,0,1]
	v_mov_b32_e32 v0, v19
	s_waitcnt lgkmcnt(0)
	v_pk_mul_f32 v[0:1], v[6:7], v[0:1] op_sel_hi:[1,0]
	v_add_u32_e32 v10, 0xc00, v78
	v_pk_fma_f32 v[88:89], v[6:7], v[18:19], v[0:1] op_sel:[0,0,1] op_sel_hi:[1,1,0]
	v_pk_fma_f32 v[18:19], v[6:7], v[18:19], v[0:1] op_sel:[0,0,1] op_sel_hi:[1,0,0] neg_lo:[0,0,1] neg_hi:[0,0,1]
	ds_read2_b64 v[0:3], v82 offset0:64 offset1:224
	s_waitcnt vmcnt(2)
	v_mov_b32_e32 v6, v23
	v_pk_mul_f32 v[6:7], v[4:5], v[6:7] op_sel_hi:[1,0]
	v_mov_b32_e32 v77, v17
	v_pk_fma_f32 v[90:91], v[4:5], v[22:23], v[6:7] op_sel:[0,0,1] op_sel_hi:[1,1,0]
	v_pk_fma_f32 v[22:23], v[4:5], v[22:23], v[6:7] op_sel:[0,0,1] op_sel_hi:[1,0,0] neg_lo:[0,0,1] neg_hi:[0,0,1]
	s_waitcnt lgkmcnt(0)
	v_pk_mul_f32 v[4:5], v[2:3], v[20:21] op_sel:[0,1]
	s_waitcnt vmcnt(1)
	v_pk_mul_f32 v[6:7], v[26:27], v[0:1] op_sel:[0,1]
	v_pk_fma_f32 v[92:93], v[2:3], v[20:21], v[4:5] op_sel:[0,0,1] op_sel_hi:[1,1,0]
	v_pk_fma_f32 v[20:21], v[2:3], v[20:21], v[4:5] op_sel:[0,0,1] op_sel_hi:[1,0,0] neg_lo:[0,0,1] neg_hi:[0,0,1]
	ds_read2_b64 v[2:5], v85 offset0:64 offset1:224
	v_pk_fma_f32 v[94:95], v[26:27], v[0:1], v[6:7] op_sel:[0,0,1] op_sel_hi:[1,1,0]
	v_pk_fma_f32 v[26:27], v[26:27], v[0:1], v[6:7] op_sel:[0,0,1] op_sel_hi:[1,0,0] neg_lo:[1,0,0] neg_hi:[1,0,0]
	ds_read2_b64 v[6:9], v79 offset1:160
	v_mov_b32_e32 v0, v29
	s_waitcnt lgkmcnt(1)
	v_pk_mul_f32 v[0:1], v[4:5], v[0:1] op_sel_hi:[1,0]
	v_mov_b32_e32 v95, v27
	v_pk_fma_f32 v[96:97], v[4:5], v[28:29], v[0:1] op_sel:[0,0,1] op_sel_hi:[1,1,0]
	v_pk_fma_f32 v[4:5], v[4:5], v[28:29], v[0:1] op_sel:[0,0,1] op_sel_hi:[1,0,0] neg_lo:[0,0,1] neg_hi:[0,0,1]
	s_waitcnt vmcnt(0)
	v_pk_mul_f32 v[0:1], v[32:33], v[2:3] op_sel:[0,1]
	v_mov_b32_e32 v97, v5
	v_pk_fma_f32 v[28:29], v[32:33], v[2:3], v[0:1] op_sel:[0,0,1] op_sel_hi:[1,1,0]
	v_pk_fma_f32 v[0:1], v[32:33], v[2:3], v[0:1] op_sel:[0,0,1] op_sel_hi:[1,0,0] neg_lo:[1,0,0] neg_hi:[1,0,0]
	s_waitcnt lgkmcnt(0)
	v_pk_mul_f32 v[2:3], v[30:31], v[8:9] op_sel:[0,1]
	v_mov_b32_e32 v29, v1
	v_pk_fma_f32 v[32:33], v[30:31], v[8:9], v[2:3] op_sel:[0,0,1] op_sel_hi:[1,1,0]
	v_pk_fma_f32 v[2:3], v[30:31], v[8:9], v[2:3] op_sel:[0,0,1] op_sel_hi:[1,0,0] neg_lo:[1,0,0] neg_hi:[1,0,0]
	v_pk_add_f32 v[30:31], v[94:95], v[66:67] neg_lo:[0,1] neg_hi:[0,1]
	v_mov_b32_e32 v33, v3
	ds_read2_b64 v[0:3], v78 offset1:160
	v_pk_add_f32 v[8:9], v[32:33], v[70:71] neg_lo:[0,1] neg_hi:[0,1]
	v_mov_b32_e32 v93, v21
	v_mov_b32_e32 v91, v23
	;; [unrolled: 1-line block ×3, first 2 shown]
	s_waitcnt lgkmcnt(0)
	v_pk_add_f32 v[4:5], v[0:1], v[28:29] neg_lo:[0,1] neg_hi:[0,1]
	v_mov_b32_e32 v75, v11
	v_pk_add_f32 v[26:27], v[4:5], v[8:9] op_sel:[0,1] op_sel_hi:[1,0]
	v_pk_add_f32 v[28:29], v[4:5], v[8:9] op_sel:[0,1] op_sel_hi:[1,0] neg_lo:[0,1] neg_hi:[0,1]
	v_pk_fma_f32 v[0:1], v[0:1], 2.0, v[4:5] op_sel_hi:[1,0,1] neg_lo:[0,0,1] neg_hi:[0,0,1]
	v_mov_b32_e32 v27, v29
	v_pk_add_f32 v[28:29], v[2:3], v[96:97] neg_lo:[0,1] neg_hi:[0,1]
	v_pk_fma_f32 v[70:71], v[4:5], 2.0, v[26:27] op_sel_hi:[1,0,1] neg_lo:[0,0,1] neg_hi:[0,0,1]
	v_pk_add_f32 v[38:39], v[28:29], v[30:31] op_sel:[0,1] op_sel_hi:[1,0]
	v_pk_add_f32 v[58:59], v[28:29], v[30:31] op_sel:[0,1] op_sel_hi:[1,0] neg_lo:[0,1] neg_hi:[0,1]
	v_pk_fma_f32 v[2:3], v[2:3], 2.0, v[28:29] op_sel_hi:[1,0,1] neg_lo:[0,0,1] neg_hi:[0,0,1]
	v_mov_b32_e32 v39, v59
	ds_read_b64 v[58:59], v57
	ds_read_b64 v[66:67], v55
	v_pk_fma_f32 v[4:5], v[32:33], 2.0, v[8:9] op_sel_hi:[1,0,1] neg_lo:[0,0,1] neg_hi:[0,0,1]
	v_pk_fma_f32 v[8:9], v[94:95], 2.0, v[30:31] op_sel_hi:[1,0,1] neg_lo:[0,0,1] neg_hi:[0,0,1]
	v_pk_add_f32 v[4:5], v[0:1], v[4:5] neg_lo:[0,1] neg_hi:[0,1]
	v_pk_add_f32 v[8:9], v[2:3], v[8:9] neg_lo:[0,1] neg_hi:[0,1]
	v_pk_fma_f32 v[0:1], v[0:1], 2.0, v[4:5] op_sel_hi:[1,0,1] neg_lo:[0,0,1] neg_hi:[0,0,1]
	v_pk_fma_f32 v[2:3], v[2:3], 2.0, v[8:9] op_sel_hi:[1,0,1] neg_lo:[0,0,1] neg_hi:[0,0,1]
	s_waitcnt lgkmcnt(0)
	s_barrier
	ds_write2_b64 v78, v[0:1], v[2:3] offset1:160
	v_pk_add_f32 v[0:1], v[6:7], v[72:73] neg_lo:[0,1] neg_hi:[0,1]
	v_pk_add_f32 v[22:23], v[66:67], v[90:91] neg_lo:[0,1] neg_hi:[0,1]
	;; [unrolled: 1-line block ×3, first 2 shown]
	v_pk_fma_f32 v[96:97], v[28:29], 2.0, v[38:39] op_sel_hi:[1,0,1] neg_lo:[0,0,1] neg_hi:[0,0,1]
	v_pk_fma_f32 v[2:3], v[6:7], 2.0, v[0:1] op_sel_hi:[1,0,1] neg_lo:[0,0,1] neg_hi:[0,0,1]
	v_mov_b32_e32 v6, 0x3200
	v_pk_fma_f32 v[28:29], v[66:67], 2.0, v[22:23] op_sel_hi:[1,0,1] neg_lo:[0,0,1] neg_hi:[0,0,1]
	v_pk_fma_f32 v[32:33], v[92:93], 2.0, v[30:31] op_sel_hi:[1,0,1] neg_lo:[0,0,1] neg_hi:[0,0,1]
	v_cndmask_b32_e32 v6, 0, v6, vcc
	v_lshlrev_b32_e32 v7, 3, v25
	v_pk_add_f32 v[32:33], v[28:29], v[32:33] neg_lo:[0,1] neg_hi:[0,1]
	ds_write2_b64 v24, v[4:5], v[8:9] offset0:32 offset1:192
	v_add_u32_e32 v4, 0x2400, v78
	ds_write2_b64 v10, v[70:71], v[96:97] offset0:16 offset1:176
	v_mov_b32_e32 v65, v37
	v_add3_u32 v15, 0, v6, v7
	v_pk_fma_f32 v[28:29], v[28:29], 2.0, v[32:33] op_sel_hi:[1,0,1] neg_lo:[0,0,1] neg_hi:[0,0,1]
	ds_write2_b64 v4, v[26:27], v[38:39] offset0:48 offset1:208
	ds_write_b64 v15, v[28:29]
	v_pk_add_f32 v[4:5], v[22:23], v[30:31] op_sel:[0,1] op_sel_hi:[1,0]
	v_pk_add_f32 v[8:9], v[22:23], v[30:31] op_sel:[0,1] op_sel_hi:[1,0] neg_lo:[0,1] neg_hi:[0,1]
	v_pk_add_f32 v[6:7], v[58:59], v[88:89] neg_lo:[0,1] neg_hi:[0,1]
	v_pk_add_f32 v[12:13], v[76:77], v[62:63] neg_lo:[0,1] neg_hi:[0,1]
	;; [unrolled: 1-line block ×3, first 2 shown]
	v_mov_b32_e32 v5, v9
	v_pk_fma_f32 v[10:11], v[58:59], 2.0, v[6:7] op_sel_hi:[1,0,1] neg_lo:[0,0,1] neg_hi:[0,0,1]
	v_pk_fma_f32 v[16:17], v[76:77], 2.0, v[12:13] op_sel_hi:[1,0,1] neg_lo:[0,0,1] neg_hi:[0,0,1]
	;; [unrolled: 1-line block ×4, first 2 shown]
	v_pk_add_f32 v[16:17], v[10:11], v[16:17] neg_lo:[0,1] neg_hi:[0,1]
	v_pk_add_f32 v[20:21], v[2:3], v[20:21] neg_lo:[0,1] neg_hi:[0,1]
	ds_write_b64 v15, v[8:9] offset:3200
	ds_write_b64 v15, v[32:33] offset:6400
	;; [unrolled: 1-line block ×3, first 2 shown]
	v_pk_add_f32 v[8:9], v[6:7], v[12:13] op_sel:[0,1] op_sel_hi:[1,0] neg_lo:[0,1] neg_hi:[0,1]
	v_pk_fma_f32 v[10:11], v[10:11], 2.0, v[16:17] op_sel_hi:[1,0,1] neg_lo:[0,0,1] neg_hi:[0,0,1]
	v_pk_fma_f32 v[2:3], v[2:3], 2.0, v[20:21] op_sel_hi:[1,0,1] neg_lo:[0,0,1] neg_hi:[0,0,1]
	v_pk_add_f32 v[4:5], v[6:7], v[12:13] op_sel:[0,1] op_sel_hi:[1,0]
	v_add_u32_e32 v8, 0x3400, v78
	v_mov_b32_e32 v5, v9
	ds_write2_b64 v8, v[10:11], v[2:3] offset0:16 offset1:176
	v_pk_add_f32 v[2:3], v[0:1], v[18:19] op_sel:[0,1] op_sel_hi:[1,0]
	v_pk_add_f32 v[8:9], v[0:1], v[18:19] op_sel:[0,1] op_sel_hi:[1,0] neg_lo:[0,1] neg_hi:[0,1]
	v_pk_fma_f32 v[6:7], v[6:7], 2.0, v[4:5] op_sel_hi:[1,0,1] neg_lo:[0,0,1] neg_hi:[0,0,1]
	v_mov_b32_e32 v3, v9
	v_pk_fma_f32 v[0:1], v[0:1], 2.0, v[2:3] op_sel_hi:[1,0,1] neg_lo:[0,0,1] neg_hi:[0,0,1]
	ds_write2_b64 v14, v[6:7], v[0:1] offset0:32 offset1:192
	v_add_u32_e32 v0, 0x4c00, v78
	ds_write2_b64 v0, v[16:17], v[20:21] offset0:48 offset1:208
	ds_write2_b64 v83, v[4:5], v[2:3] offset0:64 offset1:224
	v_lshl_add_u64 v[0:1], v[44:45], 3, s[4:5]
	v_add_co_u32_e32 v0, vcc, s2, v0
	s_waitcnt lgkmcnt(0)
	s_nop 0
	v_addc_co_u32_e32 v1, vcc, 0, v1, vcc
	s_barrier
	global_load_dwordx2 v[12:13], v[0:1], off offset:432
	v_lshl_add_u64 v[0:1], s[4:5], 0, v[46:47]
	v_add_co_u32_e32 v2, vcc, s2, v0
	s_nop 1
	v_addc_co_u32_e32 v3, vcc, 0, v1, vcc
	global_load_dwordx2 v[14:15], v[2:3], off offset:1712
	v_lshl_add_u64 v[2:3], s[4:5], 0, v[48:49]
	v_add_co_u32_e32 v2, vcc, s2, v2
	s_nop 1
	v_addc_co_u32_e32 v3, vcc, 0, v3, vcc
	;; [unrolled: 5-line block ×3, first 2 shown]
	global_load_dwordx2 v[18:19], v[2:3], off offset:432
	v_add_co_u32_e32 v2, vcc, s3, v0
	s_movk_i32 s3, 0x5000
	s_nop 0
	v_addc_co_u32_e32 v3, vcc, 0, v1, vcc
	global_load_dwordx2 v[20:21], v[2:3], off offset:1456
	global_load_dwordx2 v[22:23], v[2:3], off offset:2736
	;; [unrolled: 1-line block ×3, first 2 shown]
	v_add_co_u32_e32 v0, vcc, s3, v0
	v_lshl_add_u64 v[2:3], s[4:5], 0, v[52:53]
	s_nop 0
	v_addc_co_u32_e32 v1, vcc, 0, v1, vcc
	global_load_dwordx2 v[26:27], v[0:1], off offset:1200
	v_add_co_u32_e32 v2, vcc, s2, v2
	s_nop 1
	v_addc_co_u32_e32 v3, vcc, 0, v3, vcc
	global_load_dwordx2 v[28:29], v[2:3], off offset:432
	global_load_dwordx2 v[30:31], v[0:1], off offset:3760
	ds_read2_b64 v[0:3], v85 offset0:64 offset1:224
	ds_read2_b64 v[4:7], v86 offset1:160
	ds_read2_b64 v[8:11], v78 offset1:160
	s_waitcnt vmcnt(9) lgkmcnt(2)
	v_pk_mul_f32 v[32:33], v[12:13], v[0:1] op_sel:[0,1]
	s_nop 0
	v_pk_fma_f32 v[34:35], v[12:13], v[0:1], v[32:33] op_sel:[0,0,1] op_sel_hi:[1,1,0]
	v_pk_fma_f32 v[0:1], v[12:13], v[0:1], v[32:33] op_sel:[0,0,1] op_sel_hi:[1,0,0] neg_lo:[1,0,0] neg_hi:[1,0,0]
	s_nop 0
	v_mov_b32_e32 v35, v1
	s_waitcnt lgkmcnt(0)
	v_pk_add_f32 v[12:13], v[8:9], v[34:35] neg_lo:[0,1] neg_hi:[0,1]
	s_waitcnt vmcnt(8)
	v_pk_mul_f32 v[0:1], v[14:15], v[2:3] op_sel:[0,1]
	s_nop 0
	v_pk_fma_f32 v[32:33], v[14:15], v[2:3], v[0:1] op_sel:[0,0,1] op_sel_hi:[1,1,0]
	v_pk_fma_f32 v[0:1], v[14:15], v[2:3], v[0:1] op_sel:[0,0,1] op_sel_hi:[1,0,0] neg_lo:[1,0,0] neg_hi:[1,0,0]
	ds_read_b64 v[2:3], v55
	v_mov_b32_e32 v33, v1
	v_pk_add_f32 v[14:15], v[10:11], v[32:33] neg_lo:[0,1] neg_hi:[0,1]
	v_pk_fma_f32 v[8:9], v[8:9], 2.0, v[12:13] op_sel_hi:[1,0,1] neg_lo:[0,0,1] neg_hi:[0,0,1]
	s_waitcnt vmcnt(7)
	v_pk_mul_f32 v[0:1], v[16:17], v[4:5] op_sel:[0,1]
	v_pk_fma_f32 v[10:11], v[10:11], 2.0, v[14:15] op_sel_hi:[1,0,1] neg_lo:[0,0,1] neg_hi:[0,0,1]
	v_pk_fma_f32 v[32:33], v[16:17], v[4:5], v[0:1] op_sel:[0,0,1] op_sel_hi:[1,1,0]
	v_pk_fma_f32 v[0:1], v[16:17], v[4:5], v[0:1] op_sel:[0,0,1] op_sel_hi:[1,0,0] neg_lo:[1,0,0] neg_hi:[1,0,0]
	ds_read_b64 v[4:5], v57
	v_mov_b32_e32 v33, v1
	s_waitcnt lgkmcnt(1)
	v_pk_add_f32 v[16:17], v[2:3], v[32:33] neg_lo:[0,1] neg_hi:[0,1]
	s_waitcnt vmcnt(6)
	v_pk_mul_f32 v[0:1], v[18:19], v[6:7] op_sel:[0,1]
	v_pk_fma_f32 v[32:33], v[2:3], 2.0, v[16:17] op_sel_hi:[1,0,1] neg_lo:[0,0,1] neg_hi:[0,0,1]
	v_pk_fma_f32 v[34:35], v[18:19], v[6:7], v[0:1] op_sel:[0,0,1] op_sel_hi:[1,1,0]
	v_pk_fma_f32 v[6:7], v[18:19], v[6:7], v[0:1] op_sel:[0,0,1] op_sel_hi:[1,0,0] neg_lo:[1,0,0] neg_hi:[1,0,0]
	ds_read2_b64 v[0:3], v84 offset0:64 offset1:224
	v_mov_b32_e32 v35, v7
	s_waitcnt lgkmcnt(1)
	v_pk_add_f32 v[18:19], v[4:5], v[34:35] neg_lo:[0,1] neg_hi:[0,1]
	s_waitcnt vmcnt(5) lgkmcnt(0)
	v_pk_mul_f32 v[36:37], v[0:1], v[20:21] op_sel:[0,1]
	v_pk_fma_f32 v[34:35], v[4:5], 2.0, v[18:19] op_sel_hi:[1,0,1] neg_lo:[0,0,1] neg_hi:[0,0,1]
	ds_read2_b64 v[4:7], v79 offset1:160
	v_pk_fma_f32 v[38:39], v[0:1], v[20:21], v[36:37] op_sel:[0,0,1] op_sel_hi:[1,1,0]
	v_pk_fma_f32 v[0:1], v[0:1], v[20:21], v[36:37] op_sel:[0,0,1] op_sel_hi:[1,0,0] neg_lo:[0,0,1] neg_hi:[0,0,1]
	s_nop 0
	v_mov_b32_e32 v39, v1
	s_waitcnt lgkmcnt(0)
	v_pk_add_f32 v[20:21], v[4:5], v[38:39] neg_lo:[0,1] neg_hi:[0,1]
	s_waitcnt vmcnt(4)
	v_pk_mul_f32 v[0:1], v[2:3], v[22:23] op_sel:[0,1]
	v_pk_fma_f32 v[36:37], v[4:5], 2.0, v[20:21] op_sel_hi:[1,0,1] neg_lo:[0,0,1] neg_hi:[0,0,1]
	v_pk_fma_f32 v[4:5], v[2:3], v[22:23], v[0:1] op_sel:[0,0,1] op_sel_hi:[1,1,0]
	v_pk_fma_f32 v[22:23], v[2:3], v[22:23], v[0:1] op_sel:[0,0,1] op_sel_hi:[1,0,0] neg_lo:[0,0,1] neg_hi:[0,0,1]
	ds_read2_b64 v[0:3], v81 offset1:160
	v_mov_b32_e32 v5, v23
	v_pk_add_f32 v[22:23], v[6:7], v[4:5] neg_lo:[0,1] neg_hi:[0,1]
	s_waitcnt vmcnt(3) lgkmcnt(0)
	v_pk_mul_f32 v[44:45], v[0:1], v[24:25] op_sel:[0,1]
	v_pk_fma_f32 v[38:39], v[6:7], 2.0, v[22:23] op_sel_hi:[1,0,1] neg_lo:[0,0,1] neg_hi:[0,0,1]
	ds_read2_b64 v[4:7], v82 offset0:64 offset1:224
	v_pk_fma_f32 v[46:47], v[0:1], v[24:25], v[44:45] op_sel:[0,0,1] op_sel_hi:[1,1,0]
	v_pk_fma_f32 v[0:1], v[0:1], v[24:25], v[44:45] op_sel:[0,0,1] op_sel_hi:[1,0,0] neg_lo:[0,0,1] neg_hi:[0,0,1]
	s_nop 0
	v_mov_b32_e32 v47, v1
	s_waitcnt lgkmcnt(0)
	v_pk_add_f32 v[24:25], v[4:5], v[46:47] neg_lo:[0,1] neg_hi:[0,1]
	s_waitcnt vmcnt(2)
	v_pk_mul_f32 v[0:1], v[2:3], v[26:27] op_sel:[0,1]
	v_pk_fma_f32 v[44:45], v[4:5], 2.0, v[24:25] op_sel_hi:[1,0,1] neg_lo:[0,0,1] neg_hi:[0,0,1]
	v_pk_fma_f32 v[4:5], v[2:3], v[26:27], v[0:1] op_sel:[0,0,1] op_sel_hi:[1,1,0]
	v_pk_fma_f32 v[26:27], v[2:3], v[26:27], v[0:1] op_sel:[0,0,1] op_sel_hi:[1,0,0] neg_lo:[0,0,1] neg_hi:[0,0,1]
	ds_read2_b64 v[0:3], v83 offset0:64 offset1:224
	v_mov_b32_e32 v5, v27
	v_pk_add_f32 v[26:27], v[6:7], v[4:5] neg_lo:[0,1] neg_hi:[0,1]
	s_waitcnt vmcnt(1) lgkmcnt(0)
	v_pk_mul_f32 v[48:49], v[0:1], v[28:29] op_sel:[0,1]
	v_pk_fma_f32 v[46:47], v[6:7], 2.0, v[26:27] op_sel_hi:[1,0,1] neg_lo:[0,0,1] neg_hi:[0,0,1]
	ds_read2_b64 v[4:7], v80 offset1:160
	v_pk_fma_f32 v[50:51], v[0:1], v[28:29], v[48:49] op_sel:[0,0,1] op_sel_hi:[1,1,0]
	v_pk_fma_f32 v[0:1], v[0:1], v[28:29], v[48:49] op_sel:[0,0,1] op_sel_hi:[1,0,0] neg_lo:[0,0,1] neg_hi:[0,0,1]
	s_waitcnt vmcnt(0)
	v_pk_mul_f32 v[28:29], v[2:3], v[30:31] op_sel:[0,1]
	v_mov_b32_e32 v51, v1
	v_pk_fma_f32 v[48:49], v[2:3], v[30:31], v[28:29] op_sel:[0,0,1] op_sel_hi:[1,1,0]
	v_pk_fma_f32 v[2:3], v[2:3], v[30:31], v[28:29] op_sel:[0,0,1] op_sel_hi:[1,0,0] neg_lo:[0,0,1] neg_hi:[0,0,1]
	s_waitcnt lgkmcnt(0)
	v_pk_add_f32 v[0:1], v[4:5], v[50:51] neg_lo:[0,1] neg_hi:[0,1]
	v_mov_b32_e32 v49, v3
	v_pk_add_f32 v[2:3], v[6:7], v[48:49] neg_lo:[0,1] neg_hi:[0,1]
	v_pk_fma_f32 v[4:5], v[4:5], 2.0, v[0:1] op_sel_hi:[1,0,1] neg_lo:[0,0,1] neg_hi:[0,0,1]
	v_pk_fma_f32 v[6:7], v[6:7], 2.0, v[2:3] op_sel_hi:[1,0,1] neg_lo:[0,0,1] neg_hi:[0,0,1]
	s_barrier
	ds_write2_b64 v78, v[8:9], v[10:11] offset1:160
	ds_write2_b64 v85, v[12:13], v[14:15] offset0:64 offset1:224
	ds_write2st64_b64 v55, v[32:33], v[16:17] offset1:25
	ds_write2st64_b64 v57, v[34:35], v[18:19] offset1:25
	ds_write2_b64 v79, v[36:37], v[38:39] offset1:160
	ds_write2_b64 v84, v[20:21], v[22:23] offset0:64 offset1:224
	ds_write2_b64 v82, v[44:45], v[46:47] offset0:64 offset1:224
	ds_write2_b64 v81, v[24:25], v[26:27] offset1:160
	ds_write2_b64 v80, v[4:5], v[6:7] offset1:160
	ds_write2_b64 v83, v[0:1], v[2:3] offset0:64 offset1:224
	s_waitcnt lgkmcnt(0)
	s_barrier
	s_and_saveexec_b64 s[2:3], s[0:1]
	s_cbranch_execz .LBB0_19
; %bb.18:
	v_lshl_add_u32 v10, v42, 3, 0
	ds_read2_b64 v[0:3], v10 offset1:160
	v_lshl_add_u64 v[4:5], v[42:43], 3, v[40:41]
	v_add_u32_e32 v6, 0xa0, v42
	v_mov_b32_e32 v7, v43
	v_lshl_add_u64 v[8:9], v[6:7], 3, v[40:41]
	s_waitcnt lgkmcnt(0)
	global_store_dwordx2 v[4:5], v[0:1], off
	v_add_u32_e32 v0, 0x800, v10
	ds_read2_b64 v[4:7], v0 offset0:64 offset1:224
	v_add_u32_e32 v0, 0x140, v42
	v_mov_b32_e32 v1, v43
	v_lshl_add_u64 v[0:1], v[0:1], 3, v[40:41]
	global_store_dwordx2 v[8:9], v[2:3], off
	s_waitcnt lgkmcnt(0)
	global_store_dwordx2 v[0:1], v[4:5], off
	v_add_u32_e32 v0, 0x1e0, v42
	v_mov_b32_e32 v1, v43
	v_lshl_add_u64 v[4:5], v[0:1], 3, v[40:41]
	v_add_u32_e32 v0, 0x1400, v10
	ds_read2_b64 v[0:3], v0 offset1:160
	global_store_dwordx2 v[4:5], v[6:7], off
	v_add_u32_e32 v4, 0x280, v42
	v_mov_b32_e32 v5, v43
	v_lshl_add_u64 v[4:5], v[4:5], 3, v[40:41]
	s_waitcnt lgkmcnt(0)
	global_store_dwordx2 v[4:5], v[0:1], off
	v_add_u32_e32 v4, 0x1c00, v10
	ds_read2_b64 v[4:7], v4 offset0:64 offset1:224
	v_add_u32_e32 v0, 0x320, v42
	v_mov_b32_e32 v1, v43
	v_lshl_add_u64 v[0:1], v[0:1], 3, v[40:41]
	global_store_dwordx2 v[0:1], v[2:3], off
	v_add_u32_e32 v0, 0x3c0, v42
	v_mov_b32_e32 v1, v43
	v_lshl_add_u64 v[0:1], v[0:1], 3, v[40:41]
	s_waitcnt lgkmcnt(0)
	global_store_dwordx2 v[0:1], v[4:5], off
	v_add_u32_e32 v0, 0x460, v42
	v_mov_b32_e32 v1, v43
	v_lshl_add_u64 v[4:5], v[0:1], 3, v[40:41]
	v_add_u32_e32 v0, 0x2800, v10
	ds_read2_b64 v[0:3], v0 offset1:160
	global_store_dwordx2 v[4:5], v[6:7], off
	v_add_u32_e32 v4, 0x500, v42
	v_mov_b32_e32 v5, v43
	v_lshl_add_u64 v[4:5], v[4:5], 3, v[40:41]
	s_waitcnt lgkmcnt(0)
	global_store_dwordx2 v[4:5], v[0:1], off
	v_add_u32_e32 v4, 0x3000, v10
	ds_read2_b64 v[4:7], v4 offset0:64 offset1:224
	v_add_u32_e32 v0, 0x5a0, v42
	v_mov_b32_e32 v1, v43
	v_lshl_add_u64 v[0:1], v[0:1], 3, v[40:41]
	global_store_dwordx2 v[0:1], v[2:3], off
	v_add_u32_e32 v0, 0x640, v42
	v_mov_b32_e32 v1, v43
	v_lshl_add_u64 v[0:1], v[0:1], 3, v[40:41]
	;; [unrolled: 22-line block ×4, first 2 shown]
	v_add_u32_e32 v42, 0xbe0, v42
	s_waitcnt lgkmcnt(0)
	global_store_dwordx2 v[0:1], v[4:5], off
	v_lshl_add_u64 v[0:1], v[42:43], 3, v[40:41]
	global_store_dwordx2 v[0:1], v[6:7], off
.LBB0_19:
	s_endpgm
	.section	.rodata,"a",@progbits
	.p2align	6, 0x0
	.amdhsa_kernel fft_rtc_back_len3200_factors_10_10_4_4_2_wgs_160_tpt_160_halfLds_sp_ip_CI_unitstride_sbrr_C2R_dirReg
		.amdhsa_group_segment_fixed_size 0
		.amdhsa_private_segment_fixed_size 0
		.amdhsa_kernarg_size 88
		.amdhsa_user_sgpr_count 2
		.amdhsa_user_sgpr_dispatch_ptr 0
		.amdhsa_user_sgpr_queue_ptr 0
		.amdhsa_user_sgpr_kernarg_segment_ptr 1
		.amdhsa_user_sgpr_dispatch_id 0
		.amdhsa_user_sgpr_kernarg_preload_length 0
		.amdhsa_user_sgpr_kernarg_preload_offset 0
		.amdhsa_user_sgpr_private_segment_size 0
		.amdhsa_uses_dynamic_stack 0
		.amdhsa_enable_private_segment 0
		.amdhsa_system_sgpr_workgroup_id_x 1
		.amdhsa_system_sgpr_workgroup_id_y 0
		.amdhsa_system_sgpr_workgroup_id_z 0
		.amdhsa_system_sgpr_workgroup_info 0
		.amdhsa_system_vgpr_workitem_id 0
		.amdhsa_next_free_vgpr 128
		.amdhsa_next_free_sgpr 22
		.amdhsa_accum_offset 128
		.amdhsa_reserve_vcc 1
		.amdhsa_float_round_mode_32 0
		.amdhsa_float_round_mode_16_64 0
		.amdhsa_float_denorm_mode_32 3
		.amdhsa_float_denorm_mode_16_64 3
		.amdhsa_dx10_clamp 1
		.amdhsa_ieee_mode 1
		.amdhsa_fp16_overflow 0
		.amdhsa_tg_split 0
		.amdhsa_exception_fp_ieee_invalid_op 0
		.amdhsa_exception_fp_denorm_src 0
		.amdhsa_exception_fp_ieee_div_zero 0
		.amdhsa_exception_fp_ieee_overflow 0
		.amdhsa_exception_fp_ieee_underflow 0
		.amdhsa_exception_fp_ieee_inexact 0
		.amdhsa_exception_int_div_zero 0
	.end_amdhsa_kernel
	.text
.Lfunc_end0:
	.size	fft_rtc_back_len3200_factors_10_10_4_4_2_wgs_160_tpt_160_halfLds_sp_ip_CI_unitstride_sbrr_C2R_dirReg, .Lfunc_end0-fft_rtc_back_len3200_factors_10_10_4_4_2_wgs_160_tpt_160_halfLds_sp_ip_CI_unitstride_sbrr_C2R_dirReg
                                        ; -- End function
	.section	.AMDGPU.csdata,"",@progbits
; Kernel info:
; codeLenInByte = 12768
; NumSgprs: 28
; NumVgprs: 128
; NumAgprs: 0
; TotalNumVgprs: 128
; ScratchSize: 0
; MemoryBound: 0
; FloatMode: 240
; IeeeMode: 1
; LDSByteSize: 0 bytes/workgroup (compile time only)
; SGPRBlocks: 3
; VGPRBlocks: 15
; NumSGPRsForWavesPerEU: 28
; NumVGPRsForWavesPerEU: 128
; AccumOffset: 128
; Occupancy: 4
; WaveLimiterHint : 1
; COMPUTE_PGM_RSRC2:SCRATCH_EN: 0
; COMPUTE_PGM_RSRC2:USER_SGPR: 2
; COMPUTE_PGM_RSRC2:TRAP_HANDLER: 0
; COMPUTE_PGM_RSRC2:TGID_X_EN: 1
; COMPUTE_PGM_RSRC2:TGID_Y_EN: 0
; COMPUTE_PGM_RSRC2:TGID_Z_EN: 0
; COMPUTE_PGM_RSRC2:TIDIG_COMP_CNT: 0
; COMPUTE_PGM_RSRC3_GFX90A:ACCUM_OFFSET: 31
; COMPUTE_PGM_RSRC3_GFX90A:TG_SPLIT: 0
	.text
	.p2alignl 6, 3212836864
	.fill 256, 4, 3212836864
	.type	__hip_cuid_59afbef91b1ab8aa,@object ; @__hip_cuid_59afbef91b1ab8aa
	.section	.bss,"aw",@nobits
	.globl	__hip_cuid_59afbef91b1ab8aa
__hip_cuid_59afbef91b1ab8aa:
	.byte	0                               ; 0x0
	.size	__hip_cuid_59afbef91b1ab8aa, 1

	.ident	"AMD clang version 19.0.0git (https://github.com/RadeonOpenCompute/llvm-project roc-6.4.0 25133 c7fe45cf4b819c5991fe208aaa96edf142730f1d)"
	.section	".note.GNU-stack","",@progbits
	.addrsig
	.addrsig_sym __hip_cuid_59afbef91b1ab8aa
	.amdgpu_metadata
---
amdhsa.kernels:
  - .agpr_count:     0
    .args:
      - .actual_access:  read_only
        .address_space:  global
        .offset:         0
        .size:           8
        .value_kind:     global_buffer
      - .offset:         8
        .size:           8
        .value_kind:     by_value
      - .actual_access:  read_only
        .address_space:  global
        .offset:         16
        .size:           8
        .value_kind:     global_buffer
      - .actual_access:  read_only
        .address_space:  global
        .offset:         24
        .size:           8
        .value_kind:     global_buffer
      - .offset:         32
        .size:           8
        .value_kind:     by_value
      - .actual_access:  read_only
        .address_space:  global
        .offset:         40
        .size:           8
        .value_kind:     global_buffer
      - .actual_access:  read_only
        .address_space:  global
        .offset:         48
        .size:           8
        .value_kind:     global_buffer
      - .offset:         56
        .size:           4
        .value_kind:     by_value
      - .actual_access:  read_only
        .address_space:  global
        .offset:         64
        .size:           8
        .value_kind:     global_buffer
      - .actual_access:  read_only
        .address_space:  global
        .offset:         72
        .size:           8
        .value_kind:     global_buffer
      - .address_space:  global
        .offset:         80
        .size:           8
        .value_kind:     global_buffer
    .group_segment_fixed_size: 0
    .kernarg_segment_align: 8
    .kernarg_segment_size: 88
    .language:       OpenCL C
    .language_version:
      - 2
      - 0
    .max_flat_workgroup_size: 160
    .name:           fft_rtc_back_len3200_factors_10_10_4_4_2_wgs_160_tpt_160_halfLds_sp_ip_CI_unitstride_sbrr_C2R_dirReg
    .private_segment_fixed_size: 0
    .sgpr_count:     28
    .sgpr_spill_count: 0
    .symbol:         fft_rtc_back_len3200_factors_10_10_4_4_2_wgs_160_tpt_160_halfLds_sp_ip_CI_unitstride_sbrr_C2R_dirReg.kd
    .uniform_work_group_size: 1
    .uses_dynamic_stack: false
    .vgpr_count:     128
    .vgpr_spill_count: 0
    .wavefront_size: 64
amdhsa.target:   amdgcn-amd-amdhsa--gfx950
amdhsa.version:
  - 1
  - 2
...

	.end_amdgpu_metadata
